;; amdgpu-corpus repo=ROCm/rocFFT kind=compiled arch=gfx1201 opt=O3
	.text
	.amdgcn_target "amdgcn-amd-amdhsa--gfx1201"
	.amdhsa_code_object_version 6
	.protected	bluestein_single_back_len2560_dim1_dp_op_CI_CI ; -- Begin function bluestein_single_back_len2560_dim1_dp_op_CI_CI
	.globl	bluestein_single_back_len2560_dim1_dp_op_CI_CI
	.p2align	8
	.type	bluestein_single_back_len2560_dim1_dp_op_CI_CI,@function
bluestein_single_back_len2560_dim1_dp_op_CI_CI: ; @bluestein_single_back_len2560_dim1_dp_op_CI_CI
; %bb.0:
	s_load_b128 s[16:19], s[0:1], 0x28
	v_mov_b32_e32 v240, v0
	s_mov_b32 s2, ttmp9
	s_mov_b32 s3, 0
	s_mov_b32 s5, exec_lo
	s_wait_kmcnt 0x0
	v_cmpx_lt_u64_e64 s[2:3], s[16:17]
	s_cbranch_execz .LBB0_2
; %bb.1:
	s_clause 0x1
	s_load_b128 s[4:7], s[0:1], 0x18
	s_load_b128 s[8:11], s[0:1], 0x0
	v_dual_mov_b32 v2, s2 :: v_dual_mov_b32 v3, s3
	s_movk_i32 s2, 0x9000
	s_mov_b32 s3, -1
	s_delay_alu instid0(VALU_DEP_1)
	v_dual_mov_b32 v4, v2 :: v_dual_lshlrev_b32 v239, 6, v240
	v_or_b32_e32 v209, 0x80, v240
	s_mov_b32 s21, 0xbfee6f0e
	s_mov_b32 s16, 0x372fe950
	s_mov_b32 s17, 0x3fd3c6ef
	scratch_store_b64 off, v[4:5], off      ; 8-byte Folded Spill
	s_mov_b32 s22, 0x9b97f4a8
	s_mov_b32 s23, 0x3fe9e377
	;; [unrolled: 1-line block ×3, first 2 shown]
	s_wait_alu 0xfffe
	s_mov_b32 s24, s16
	s_mov_b32 s27, 0xbfe9e377
	;; [unrolled: 1-line block ×3, first 2 shown]
	s_load_b64 s[0:1], s[0:1], 0x38
	s_wait_kmcnt 0x0
	s_load_b128 s[12:15], s[4:5], 0x0
	v_lshlrev_b32_e32 v238, 4, v240
	v_lshlrev_b32_e32 v160, 2, v240
	s_delay_alu instid0(VALU_DEP_1)
	v_or_b32_e32 v157, 0x600, v160
	v_or_b32_e32 v158, 0x800, v160
	;; [unrolled: 1-line block ×3, first 2 shown]
	s_wait_kmcnt 0x0
	v_mad_co_u64_u32 v[0:1], null, s14, v2, 0
	v_mad_co_u64_u32 v[2:3], null, s12, v240, 0
	s_mul_u64 s[4:5], s[12:13], 0x2800
	s_delay_alu instid0(VALU_DEP_1) | instskip(SKIP_1) | instid1(VALU_DEP_1)
	v_mad_co_u64_u32 v[4:5], null, s15, v4, v[1:2]
	s_mov_b32 s15, 0xbfe2cf23
	v_mad_co_u64_u32 v[5:6], null, s13, v240, v[3:4]
	v_mov_b32_e32 v1, v4
	s_mul_u64 s[12:13], s[12:13], s[2:3]
	s_delay_alu instid0(VALU_DEP_1) | instskip(NEXT) | instid1(VALU_DEP_3)
	v_lshlrev_b64_e32 v[0:1], 4, v[0:1]
	v_mov_b32_e32 v3, v5
	s_delay_alu instid0(VALU_DEP_1) | instskip(NEXT) | instid1(VALU_DEP_3)
	v_lshlrev_b64_e32 v[2:3], 4, v[2:3]
	v_add_co_u32 v0, vcc_lo, s18, v0
	s_delay_alu instid0(VALU_DEP_4) | instskip(SKIP_1) | instid1(VALU_DEP_2)
	v_add_co_ci_u32_e32 v1, vcc_lo, s19, v1, vcc_lo
	s_mov_b32 s18, 0x134454ff
	v_add_co_u32 v5, vcc_lo, v0, v2
	s_wait_alu 0xfffd
	s_delay_alu instid0(VALU_DEP_2)
	v_add_co_ci_u32_e32 v6, vcc_lo, v1, v3, vcc_lo
	global_load_b128 v[11:14], v238, s[8:9]
	global_load_b128 v[1:4], v[5:6], off
	v_add_co_u32 v5, vcc_lo, v5, s4
	s_wait_alu 0xfffd
	v_add_co_ci_u32_e32 v6, vcc_lo, s5, v6, vcc_lo
	global_load_b128 v[53:56], v238, s[8:9] offset:10240
	global_load_b128 v[25:28], v[5:6], off
	v_add_co_u32 v5, vcc_lo, v5, s4
	s_wait_alu 0xfffd
	v_add_co_ci_u32_e32 v6, vcc_lo, s5, v6, vcc_lo
	global_load_b128 v[49:52], v238, s[8:9] offset:20480
	;; [unrolled: 5-line block ×3, first 2 shown]
	global_load_b128 v[33:36], v[5:6], off
	s_wait_alu 0xfffe
	v_add_co_u32 v5, vcc_lo, v5, s12
	s_wait_alu 0xfffd
	v_add_co_ci_u32_e32 v6, vcc_lo, s13, v6, vcc_lo
	global_load_b128 v[45:48], v238, s[8:9] offset:2048
	global_load_b128 v[37:40], v[5:6], off
	v_add_co_u32 v5, vcc_lo, v5, s4
	s_wait_alu 0xfffd
	v_add_co_ci_u32_e32 v6, vcc_lo, s5, v6, vcc_lo
	global_load_b128 v[19:22], v238, s[8:9] offset:12288
	global_load_b128 v[41:44], v[5:6], off
	v_add_co_u32 v5, vcc_lo, v5, s4
	s_wait_alu 0xfffd
	v_add_co_ci_u32_e32 v6, vcc_lo, s5, v6, vcc_lo
	s_mov_b32 s19, 0x3fee6f0e
	s_mov_b32 s20, s18
	s_wait_loadcnt 0xb
	scratch_store_b128 off, v[11:14], off offset:184 ; 16-byte Folded Spill
	s_wait_loadcnt 0xa
	v_mul_f64_e32 v[7:8], v[3:4], v[13:14]
	v_mul_f64_e32 v[9:10], v[1:2], v[13:14]
	s_wait_loadcnt 0x3
	scratch_store_b128 off, v[45:48], off offset:8 ; 16-byte Folded Spill
	s_wait_loadcnt 0x1
	scratch_store_b128 off, v[19:22], off offset:24 ; 16-byte Folded Spill
	v_fma_f64 v[1:2], v[1:2], v[11:12], v[7:8]
	v_fma_f64 v[3:4], v[3:4], v[11:12], -v[9:10]
	v_mul_f64_e32 v[7:8], v[27:28], v[55:56]
	v_mul_f64_e32 v[9:10], v[25:26], v[55:56]
	global_load_b128 v[11:14], v238, s[8:9] offset:22528
	scratch_store_b128 off, v[15:18], off offset:72 ; 16-byte Folded Spill
	v_fma_f64 v[81:82], v[25:26], v[53:54], v[7:8]
	v_fma_f64 v[83:84], v[27:28], v[53:54], -v[9:10]
	v_mul_f64_e32 v[7:8], v[31:32], v[51:52]
	v_mul_f64_e32 v[9:10], v[29:30], v[51:52]
	s_delay_alu instid0(VALU_DEP_2) | instskip(NEXT) | instid1(VALU_DEP_2)
	v_fma_f64 v[85:86], v[29:30], v[49:50], v[7:8]
	v_fma_f64 v[87:88], v[31:32], v[49:50], -v[9:10]
	global_load_b128 v[29:32], v[5:6], off
	v_mul_f64_e32 v[7:8], v[35:36], v[17:18]
	v_mul_f64_e32 v[9:10], v[33:34], v[17:18]
	v_add_co_u32 v5, vcc_lo, v5, s4
	s_wait_alu 0xfffd
	v_add_co_ci_u32_e32 v6, vcc_lo, s5, v6, vcc_lo
	s_delay_alu instid0(VALU_DEP_4) | instskip(NEXT) | instid1(VALU_DEP_4)
	v_fma_f64 v[89:90], v[33:34], v[15:16], v[7:8]
	v_fma_f64 v[91:92], v[35:36], v[15:16], -v[9:10]
	v_mul_f64_e32 v[7:8], v[39:40], v[47:48]
	v_mul_f64_e32 v[9:10], v[37:38], v[47:48]
	global_load_b128 v[33:36], v[5:6], off
	v_add_co_u32 v5, vcc_lo, v5, s12
	s_wait_alu 0xfffd
	v_add_co_ci_u32_e32 v6, vcc_lo, s13, v6, vcc_lo
	v_fma_f64 v[93:94], v[37:38], v[45:46], v[7:8]
	v_fma_f64 v[95:96], v[39:40], v[45:46], -v[9:10]
	s_wait_loadcnt 0x3
	v_mul_f64_e32 v[7:8], v[43:44], v[21:22]
	v_mul_f64_e32 v[9:10], v[41:42], v[21:22]
	global_load_b128 v[37:40], v[5:6], off
	v_add_co_u32 v5, vcc_lo, v5, s4
	s_wait_alu 0xfffd
	v_add_co_ci_u32_e32 v6, vcc_lo, s5, v6, vcc_lo
	v_fma_f64 v[97:98], v[41:42], v[19:20], v[7:8]
	v_fma_f64 v[99:100], v[43:44], v[19:20], -v[9:10]
	global_load_b128 v[41:44], v[5:6], off
	v_add_co_u32 v5, vcc_lo, v5, s4
	s_wait_alu 0xfffd
	v_add_co_ci_u32_e32 v6, vcc_lo, s5, v6, vcc_lo
	global_load_b128 v[45:48], v[5:6], off
	v_add_co_u32 v5, vcc_lo, v5, s4
	s_wait_alu 0xfffd
	v_add_co_ci_u32_e32 v6, vcc_lo, s5, v6, vcc_lo
	s_wait_loadcnt 0x5
	scratch_store_b128 off, v[11:14], off offset:40 ; 16-byte Folded Spill
	s_wait_loadcnt 0x4
	v_mul_f64_e32 v[7:8], v[31:32], v[13:14]
	v_mul_f64_e32 v[9:10], v[29:30], v[13:14]
	s_delay_alu instid0(VALU_DEP_2) | instskip(NEXT) | instid1(VALU_DEP_2)
	v_fma_f64 v[101:102], v[29:30], v[11:12], v[7:8]
	v_fma_f64 v[103:104], v[31:32], v[11:12], -v[9:10]
	global_load_b128 v[11:14], v238, s[8:9] offset:32768
	scratch_store_b128 off, v[49:52], off offset:152 ; 16-byte Folded Spill
	global_load_b128 v[49:52], v[5:6], off
	v_add_co_u32 v5, vcc_lo, v5, s12
	s_wait_alu 0xfffd
	v_add_co_ci_u32_e32 v6, vcc_lo, s13, v6, vcc_lo
	s_wait_loadcnt 0x1
	scratch_store_b128 off, v[11:14], off offset:56 ; 16-byte Folded Spill
	v_mul_f64_e32 v[7:8], v[35:36], v[13:14]
	v_mul_f64_e32 v[9:10], v[33:34], v[13:14]
	s_delay_alu instid0(VALU_DEP_2) | instskip(NEXT) | instid1(VALU_DEP_2)
	v_fma_f64 v[105:106], v[33:34], v[11:12], v[7:8]
	v_fma_f64 v[107:108], v[35:36], v[11:12], -v[9:10]
	global_load_b128 v[11:14], v238, s[8:9] offset:4096
	scratch_store_b128 off, v[53:56], off offset:168 ; 16-byte Folded Spill
	s_wait_loadcnt 0x0
	scratch_store_b128 off, v[11:14], off offset:88 ; 16-byte Folded Spill
	v_mul_f64_e32 v[7:8], v[39:40], v[13:14]
	v_mul_f64_e32 v[9:10], v[37:38], v[13:14]
	s_delay_alu instid0(VALU_DEP_2) | instskip(NEXT) | instid1(VALU_DEP_2)
	v_fma_f64 v[109:110], v[37:38], v[11:12], v[7:8]
	v_fma_f64 v[111:112], v[39:40], v[11:12], -v[9:10]
	global_load_b128 v[11:14], v238, s[8:9] offset:14336
	s_wait_loadcnt 0x0
	v_mul_f64_e32 v[7:8], v[43:44], v[13:14]
	v_mul_f64_e32 v[9:10], v[41:42], v[13:14]
	scratch_store_b128 off, v[11:14], off offset:104 ; 16-byte Folded Spill
	v_fma_f64 v[113:114], v[41:42], v[11:12], v[7:8]
	v_fma_f64 v[115:116], v[43:44], v[11:12], -v[9:10]
	global_load_b128 v[11:14], v238, s[8:9] offset:24576
	s_wait_loadcnt 0x0
	v_mul_f64_e32 v[7:8], v[47:48], v[13:14]
	v_mul_f64_e32 v[9:10], v[45:46], v[13:14]
	scratch_store_b128 off, v[11:14], off offset:120 ; 16-byte Folded Spill
	;; [unrolled: 7-line block ×3, first 2 shown]
	v_fma_f64 v[121:122], v[49:50], v[11:12], v[7:8]
	v_fma_f64 v[123:124], v[51:52], v[11:12], -v[9:10]
	global_load_b128 v[49:52], v238, s[8:9] offset:6144
	global_load_b128 v[53:56], v[5:6], off
	v_add_co_u32 v5, vcc_lo, v5, s4
	s_wait_alu 0xfffd
	v_add_co_ci_u32_e32 v6, vcc_lo, s5, v6, vcc_lo
	s_wait_loadcnt 0x0
	v_mul_f64_e32 v[7:8], v[55:56], v[51:52]
	v_mul_f64_e32 v[9:10], v[53:54], v[51:52]
	s_delay_alu instid0(VALU_DEP_2) | instskip(NEXT) | instid1(VALU_DEP_2)
	v_fma_f64 v[125:126], v[53:54], v[49:50], v[7:8]
	v_fma_f64 v[127:128], v[55:56], v[49:50], -v[9:10]
	global_load_b128 v[53:56], v238, s[8:9] offset:16384
	global_load_b128 v[57:60], v[5:6], off
	v_add_co_u32 v5, vcc_lo, v5, s4
	s_wait_alu 0xfffd
	v_add_co_ci_u32_e32 v6, vcc_lo, s5, v6, vcc_lo
	s_wait_loadcnt 0x0
	v_mul_f64_e32 v[7:8], v[59:60], v[55:56]
	v_mul_f64_e32 v[9:10], v[57:58], v[55:56]
	s_delay_alu instid0(VALU_DEP_2) | instskip(NEXT) | instid1(VALU_DEP_2)
	;; [unrolled: 11-line block ×3, first 2 shown]
	v_fma_f64 v[133:134], v[61:62], v[57:58], v[7:8]
	v_fma_f64 v[135:136], v[63:64], v[57:58], -v[9:10]
	global_load_b128 v[61:64], v238, s[8:9] offset:36864
	global_load_b128 v[65:68], v[5:6], off
	v_add_co_u32 v5, vcc_lo, v5, s12
	s_wait_alu 0xfffd
	v_add_co_ci_u32_e32 v6, vcc_lo, s13, v6, vcc_lo
	s_mov_b32 s12, 0x4755a5e
	s_mov_b32 s13, 0x3fe2cf23
	s_wait_alu 0xfffe
	s_mov_b32 s14, s12
	s_wait_loadcnt 0x0
	v_mul_f64_e32 v[7:8], v[67:68], v[63:64]
	v_mul_f64_e32 v[9:10], v[65:66], v[63:64]
	s_delay_alu instid0(VALU_DEP_2) | instskip(NEXT) | instid1(VALU_DEP_2)
	v_fma_f64 v[137:138], v[65:66], v[61:62], v[7:8]
	v_fma_f64 v[139:140], v[67:68], v[61:62], -v[9:10]
	global_load_b128 v[65:68], v238, s[8:9] offset:8192
	global_load_b128 v[69:72], v[5:6], off
	v_add_co_u32 v5, vcc_lo, v5, s4
	s_wait_alu 0xfffd
	v_add_co_ci_u32_e32 v6, vcc_lo, s5, v6, vcc_lo
	s_wait_loadcnt 0x0
	v_mul_f64_e32 v[7:8], v[71:72], v[67:68]
	v_mul_f64_e32 v[9:10], v[69:70], v[67:68]
	s_delay_alu instid0(VALU_DEP_2) | instskip(NEXT) | instid1(VALU_DEP_2)
	v_fma_f64 v[141:142], v[69:70], v[65:66], v[7:8]
	v_fma_f64 v[143:144], v[71:72], v[65:66], -v[9:10]
	global_load_b128 v[69:72], v238, s[8:9] offset:18432
	global_load_b128 v[73:76], v[5:6], off
	v_add_co_u32 v5, vcc_lo, v5, s4
	s_wait_alu 0xfffd
	v_add_co_ci_u32_e32 v6, vcc_lo, s5, v6, vcc_lo
	;; [unrolled: 11-line block ×3, first 2 shown]
	s_wait_loadcnt 0x0
	v_mul_f64_e32 v[7:8], v[79:80], v[75:76]
	v_mul_f64_e32 v[9:10], v[77:78], v[75:76]
	s_delay_alu instid0(VALU_DEP_2) | instskip(NEXT) | instid1(VALU_DEP_2)
	v_fma_f64 v[149:150], v[77:78], v[73:74], v[7:8]
	v_fma_f64 v[151:152], v[79:80], v[73:74], -v[9:10]
	global_load_b128 v[153:156], v[5:6], off
	global_load_b128 v[77:80], v238, s[8:9] offset:38912
	s_wait_loadcnt 0x0
	v_mul_f64_e32 v[5:6], v[155:156], v[79:80]
	v_mul_f64_e32 v[7:8], v[153:154], v[79:80]
	s_delay_alu instid0(VALU_DEP_2) | instskip(NEXT) | instid1(VALU_DEP_2)
	v_fma_f64 v[153:154], v[153:154], v[77:78], v[5:6]
	v_fma_f64 v[155:156], v[155:156], v[77:78], -v[7:8]
	ds_store_b128 v238, v[1:4]
	ds_store_b128 v238, v[81:84] offset:10240
	ds_store_b128 v238, v[85:88] offset:20480
	;; [unrolled: 1-line block ×19, first 2 shown]
	s_load_b128 s[4:7], s[6:7], 0x0
	global_wb scope:SCOPE_SE
	s_wait_storecnt_dscnt 0x0
	s_wait_kmcnt 0x0
	s_barrier_signal -1
	s_barrier_wait -1
	global_inv scope:SCOPE_SE
	ds_load_b128 v[1:4], v238 offset:10240
	ds_load_b128 v[81:84], v238 offset:30720
	s_mul_u64 s[2:3], s[4:5], s[2:3]
	s_wait_dscnt 0x0
	v_add_f64_e64 v[5:6], v[1:2], -v[81:82]
	v_add_f64_e64 v[7:8], v[3:4], -v[83:84]
	ds_load_b128 v[81:84], v238 offset:20480
	ds_load_b128 v[85:88], v238
	s_wait_dscnt 0x0
	v_add_f64_e64 v[9:10], v[85:86], -v[81:82]
	v_add_f64_e64 v[11:12], v[87:88], -v[83:84]
	v_fma_f64 v[13:14], v[1:2], 2.0, -v[5:6]
	v_fma_f64 v[15:16], v[3:4], 2.0, -v[7:8]
	s_delay_alu instid0(VALU_DEP_4) | instskip(NEXT) | instid1(VALU_DEP_4)
	v_add_f64_e64 v[1:2], v[9:10], -v[7:8]
	v_add_f64_e32 v[3:4], v[11:12], v[5:6]
	v_fma_f64 v[5:6], v[85:86], 2.0, -v[9:10]
	v_fma_f64 v[7:8], v[87:88], 2.0, -v[11:12]
	ds_load_b128 v[85:88], v238 offset:2048
	ds_load_b128 v[89:92], v238 offset:22528
	;; [unrolled: 1-line block ×16, first 2 shown]
	global_wb scope:SCOPE_SE
	s_wait_dscnt 0x0
	s_barrier_signal -1
	s_barrier_wait -1
	global_inv scope:SCOPE_SE
	v_fma_f64 v[81:82], v[9:10], 2.0, -v[1:2]
	v_fma_f64 v[83:84], v[11:12], 2.0, -v[3:4]
	ds_store_b128 v239, v[1:4] offset:48
	v_add_f64_e64 v[3:4], v[97:98], -v[93:94]
	v_add_f64_e64 v[0:1], v[99:100], -v[95:96]
	;; [unrolled: 1-line block ×4, first 2 shown]
	s_delay_alu instid0(VALU_DEP_4) | instskip(NEXT) | instid1(VALU_DEP_4)
	v_fma_f64 v[17:18], v[97:98], 2.0, -v[3:4]
	v_fma_f64 v[19:20], v[99:100], 2.0, -v[0:1]
	s_delay_alu instid0(VALU_DEP_4) | instskip(NEXT) | instid1(VALU_DEP_4)
	v_add_f64_e64 v[1:2], v[9:10], -v[0:1]
	v_add_f64_e32 v[3:4], v[11:12], v[3:4]
	v_lshlrev_b32_e32 v0, 6, v209
	v_fma_f64 v[21:22], v[85:86], 2.0, -v[9:10]
	v_fma_f64 v[23:24], v[87:88], 2.0, -v[11:12]
	s_delay_alu instid0(VALU_DEP_3)
	v_mov_b32_e32 v149, v0
	scratch_store_b32 off, v149, off offset:204 ; 4-byte Folded Spill
	v_fma_f64 v[85:86], v[9:10], 2.0, -v[1:2]
	v_fma_f64 v[87:88], v[11:12], 2.0, -v[3:4]
	ds_store_b128 v0, v[1:4] offset:48
	v_add_f64_e64 v[3:4], v[125:126], -v[129:130]
	v_add_f64_e64 v[0:1], v[127:128], -v[131:132]
	;; [unrolled: 1-line block ×4, first 2 shown]
	s_delay_alu instid0(VALU_DEP_4) | instskip(NEXT) | instid1(VALU_DEP_4)
	v_fma_f64 v[25:26], v[125:126], 2.0, -v[3:4]
	v_fma_f64 v[27:28], v[127:128], 2.0, -v[0:1]
	s_delay_alu instid0(VALU_DEP_4) | instskip(NEXT) | instid1(VALU_DEP_4)
	v_add_f64_e64 v[1:2], v[9:10], -v[0:1]
	v_add_f64_e32 v[3:4], v[11:12], v[3:4]
	v_fma_f64 v[29:30], v[117:118], 2.0, -v[9:10]
	v_lshlrev_b32_e32 v118, 4, v157
	v_fma_f64 v[31:32], v[119:120], 2.0, -v[11:12]
	v_lshlrev_b32_e32 v117, 4, v158
	v_fma_f64 v[89:90], v[9:10], 2.0, -v[1:2]
	v_fma_f64 v[91:92], v[11:12], 2.0, -v[3:4]
	ds_store_b128 v118, v[1:4] offset:48
	v_add_f64_e64 v[3:4], v[141:142], -v[145:146]
	v_add_f64_e64 v[0:1], v[143:144], -v[147:148]
	;; [unrolled: 1-line block ×4, first 2 shown]
	s_delay_alu instid0(VALU_DEP_4) | instskip(NEXT) | instid1(VALU_DEP_4)
	v_fma_f64 v[33:34], v[141:142], 2.0, -v[3:4]
	v_fma_f64 v[35:36], v[143:144], 2.0, -v[0:1]
	s_delay_alu instid0(VALU_DEP_4) | instskip(NEXT) | instid1(VALU_DEP_4)
	v_add_f64_e64 v[1:2], v[9:10], -v[0:1]
	v_add_f64_e32 v[3:4], v[11:12], v[3:4]
	v_fma_f64 v[37:38], v[133:134], 2.0, -v[9:10]
	v_fma_f64 v[39:40], v[135:136], 2.0, -v[11:12]
	s_delay_alu instid0(VALU_DEP_4) | instskip(NEXT) | instid1(VALU_DEP_4)
	v_fma_f64 v[93:94], v[9:10], 2.0, -v[1:2]
	v_fma_f64 v[95:96], v[11:12], 2.0, -v[3:4]
	ds_store_b128 v117, v[1:4] offset:48
	v_add_f64_e64 v[3:4], v[109:110], -v[113:114]
	v_add_f64_e64 v[0:1], v[111:112], -v[115:116]
	;; [unrolled: 1-line block ×4, first 2 shown]
	s_delay_alu instid0(VALU_DEP_4) | instskip(NEXT) | instid1(VALU_DEP_4)
	v_fma_f64 v[41:42], v[109:110], 2.0, -v[3:4]
	v_fma_f64 v[43:44], v[111:112], 2.0, -v[0:1]
	s_delay_alu instid0(VALU_DEP_4) | instskip(NEXT) | instid1(VALU_DEP_4)
	v_add_f64_e64 v[1:2], v[9:10], -v[0:1]
	v_add_f64_e32 v[3:4], v[11:12], v[3:4]
	v_lshlrev_b32_e32 v0, 4, v159
	v_fma_f64 v[45:46], v[101:102], 2.0, -v[9:10]
	v_fma_f64 v[47:48], v[103:104], 2.0, -v[11:12]
	scratch_store_b32 off, v0, off offset:208 ; 4-byte Folded Spill
	v_fma_f64 v[97:98], v[9:10], 2.0, -v[1:2]
	v_fma_f64 v[99:100], v[11:12], 2.0, -v[3:4]
	ds_store_b128 v0, v[1:4] offset:48
	v_add_f64_e64 v[1:2], v[5:6], -v[13:14]
	v_add_f64_e64 v[3:4], v[7:8], -v[15:16]
	s_delay_alu instid0(VALU_DEP_2) | instskip(NEXT) | instid1(VALU_DEP_2)
	v_fma_f64 v[101:102], v[5:6], 2.0, -v[1:2]
	v_fma_f64 v[103:104], v[7:8], 2.0, -v[3:4]
	ds_store_b128 v239, v[1:4] offset:32
	v_add_f64_e64 v[1:2], v[21:22], -v[17:18]
	v_add_f64_e64 v[3:4], v[23:24], -v[19:20]
	ds_store_b128 v149, v[1:4] offset:32
	ds_store_b128 v0, v[97:100] offset:16
	v_fma_f64 v[105:106], v[21:22], 2.0, -v[1:2]
	v_fma_f64 v[107:108], v[23:24], 2.0, -v[3:4]
	v_add_f64_e64 v[1:2], v[45:46], -v[41:42]
	v_add_f64_e64 v[3:4], v[47:48], -v[43:44]
	ds_store_b128 v117, v[93:96] offset:16
	s_clause 0x1
	scratch_store_b32 off, v118, off offset:216
	scratch_store_b32 off, v117, off offset:212
	v_fma_f64 v[97:98], v[45:46], 2.0, -v[1:2]
	v_fma_f64 v[99:100], v[47:48], 2.0, -v[3:4]
	ds_store_b128 v0, v[1:4] offset:32
	v_add_f64_e64 v[1:2], v[29:30], -v[25:26]
	v_add_f64_e64 v[3:4], v[31:32], -v[27:28]
	ds_store_b128 v118, v[89:92] offset:16
	v_lshlrev_b32_e32 v0, 4, v160
	v_fma_f64 v[89:90], v[29:30], 2.0, -v[1:2]
	ds_store_b128 v118, v[1:4] offset:32
	v_fma_f64 v[91:92], v[31:32], 2.0, -v[3:4]
	v_add_f64_e64 v[1:2], v[37:38], -v[33:34]
	v_add_f64_e64 v[3:4], v[39:40], -v[35:36]
	ds_store_b128 v117, v[1:4] offset:32
	ds_store_b128 v239, v[81:84] offset:16
	;; [unrolled: 1-line block ×3, first 2 shown]
	ds_store_b128 v239, v[101:104]
	ds_store_b128 v239, v[105:108] offset:8192
	v_fma_f64 v[93:94], v[37:38], 2.0, -v[1:2]
	v_fma_f64 v[95:96], v[39:40], 2.0, -v[3:4]
	v_and_b32_e32 v2, 3, v240
	scratch_store_b32 off, v0, off offset:200 ; 4-byte Folded Spill
	ds_store_b128 v0, v[97:100] offset:16384
	ds_store_b128 v0, v[89:92] offset:24576
	;; [unrolled: 1-line block ×3, first 2 shown]
	v_mad_co_u64_u32 v[0:1], null, v2, 48, s[10:11]
	global_wb scope:SCOPE_SE
	s_wait_storecnt_dscnt 0x0
	s_barrier_signal -1
	s_barrier_wait -1
	global_inv scope:SCOPE_SE
	ds_load_b128 v[89:92], v238 offset:10240
	ds_load_b128 v[97:100], v238 offset:30720
	s_clause 0x1
	global_load_b128 v[85:88], v[0:1], off
	global_load_b128 v[93:96], v[0:1], off offset:16
	ds_load_b128 v[131:134], v238 offset:18432
	ds_load_b128 v[143:146], v238 offset:28672
	s_wait_loadcnt_dscnt 0x103
	v_mul_f64_e32 v[3:4], v[91:92], v[87:88]
	s_delay_alu instid0(VALU_DEP_1) | instskip(SKIP_1) | instid1(VALU_DEP_1)
	v_fma_f64 v[81:82], v[89:90], v[85:86], -v[3:4]
	v_mul_f64_e32 v[3:4], v[89:90], v[87:88]
	v_fma_f64 v[83:84], v[91:92], v[85:86], v[3:4]
	ds_load_b128 v[89:92], v238 offset:20480
	s_wait_loadcnt_dscnt 0x0
	v_mul_f64_e32 v[3:4], v[91:92], v[95:96]
	v_mul_f64_e32 v[5:6], v[89:90], v[95:96]
	s_delay_alu instid0(VALU_DEP_2) | instskip(NEXT) | instid1(VALU_DEP_2)
	v_fma_f64 v[3:4], v[89:90], v[93:94], -v[3:4]
	v_fma_f64 v[5:6], v[91:92], v[93:94], v[5:6]
	global_load_b128 v[89:92], v[0:1], off offset:32
	s_wait_loadcnt 0x0
	v_mul_f64_e32 v[7:8], v[97:98], v[91:92]
	v_mul_f64_e32 v[0:1], v[99:100], v[91:92]
	s_delay_alu instid0(VALU_DEP_2)
	v_fma_f64 v[7:8], v[99:100], v[89:90], v[7:8]
	ds_load_b128 v[99:102], v238 offset:12288
	v_fma_f64 v[0:1], v[97:98], v[89:90], -v[0:1]
	s_wait_dscnt 0x0
	v_mul_f64_e32 v[9:10], v[101:102], v[87:88]
	v_add_f64_e64 v[7:8], v[83:84], -v[7:8]
	s_delay_alu instid0(VALU_DEP_3) | instskip(SKIP_1) | instid1(VALU_DEP_1)
	v_add_f64_e64 v[13:14], v[81:82], -v[0:1]
	v_and_or_b32 v0, 0x1f0, v160, v2
	v_lshlrev_b32_e32 v242, 4, v0
	v_fma_f64 v[97:98], v[99:100], v[85:86], -v[9:10]
	v_mul_f64_e32 v[9:10], v[99:100], v[87:88]
	s_delay_alu instid0(VALU_DEP_1) | instskip(SKIP_3) | instid1(VALU_DEP_1)
	v_fma_f64 v[99:100], v[101:102], v[85:86], v[9:10]
	ds_load_b128 v[101:104], v238 offset:22528
	s_wait_dscnt 0x0
	v_mul_f64_e32 v[9:10], v[103:104], v[95:96]
	v_fma_f64 v[113:114], v[101:102], v[93:94], -v[9:10]
	v_mul_f64_e32 v[9:10], v[101:102], v[95:96]
	s_delay_alu instid0(VALU_DEP_1) | instskip(SKIP_3) | instid1(VALU_DEP_1)
	v_fma_f64 v[121:122], v[103:104], v[93:94], v[9:10]
	ds_load_b128 v[101:104], v238 offset:32768
	s_wait_dscnt 0x0
	v_mul_f64_e32 v[9:10], v[103:104], v[91:92]
	v_fma_f64 v[115:116], v[101:102], v[89:90], -v[9:10]
	v_mul_f64_e32 v[9:10], v[101:102], v[91:92]
	s_delay_alu instid0(VALU_DEP_2) | instskip(NEXT) | instid1(VALU_DEP_2)
	v_add_f64_e64 v[19:20], v[97:98], -v[115:116]
	v_fma_f64 v[135:136], v[103:104], v[89:90], v[9:10]
	ds_load_b128 v[103:106], v238 offset:14336
	s_wait_dscnt 0x0
	v_mul_f64_e32 v[9:10], v[105:106], v[87:88]
	v_add_f64_e64 v[17:18], v[99:100], -v[135:136]
	s_delay_alu instid0(VALU_DEP_2) | instskip(SKIP_1) | instid1(VALU_DEP_1)
	v_fma_f64 v[101:102], v[103:104], v[85:86], -v[9:10]
	v_mul_f64_e32 v[9:10], v[103:104], v[87:88]
	v_fma_f64 v[103:104], v[105:106], v[85:86], v[9:10]
	ds_load_b128 v[105:108], v238 offset:24576
	s_wait_dscnt 0x0
	v_mul_f64_e32 v[9:10], v[107:108], v[95:96]
	s_delay_alu instid0(VALU_DEP_1) | instskip(SKIP_1) | instid1(VALU_DEP_1)
	v_fma_f64 v[117:118], v[105:106], v[93:94], -v[9:10]
	v_mul_f64_e32 v[9:10], v[105:106], v[95:96]
	v_fma_f64 v[123:124], v[107:108], v[93:94], v[9:10]
	ds_load_b128 v[105:108], v238 offset:34816
	s_wait_dscnt 0x0
	v_mul_f64_e32 v[9:10], v[107:108], v[91:92]
	s_delay_alu instid0(VALU_DEP_1) | instskip(SKIP_1) | instid1(VALU_DEP_2)
	v_fma_f64 v[119:120], v[105:106], v[89:90], -v[9:10]
	v_mul_f64_e32 v[9:10], v[105:106], v[91:92]
	v_add_f64_e64 v[29:30], v[101:102], -v[119:120]
	s_delay_alu instid0(VALU_DEP_2) | instskip(SKIP_4) | instid1(VALU_DEP_2)
	v_fma_f64 v[137:138], v[107:108], v[89:90], v[9:10]
	ds_load_b128 v[107:110], v238 offset:16384
	s_wait_dscnt 0x0
	v_mul_f64_e32 v[9:10], v[109:110], v[87:88]
	v_add_f64_e64 v[27:28], v[103:104], -v[137:138]
	v_fma_f64 v[105:106], v[107:108], v[85:86], -v[9:10]
	v_mul_f64_e32 v[9:10], v[107:108], v[87:88]
	s_delay_alu instid0(VALU_DEP_1) | instskip(SKIP_3) | instid1(VALU_DEP_1)
	v_fma_f64 v[107:108], v[109:110], v[85:86], v[9:10]
	ds_load_b128 v[109:112], v238 offset:26624
	s_wait_dscnt 0x0
	v_mul_f64_e32 v[9:10], v[111:112], v[95:96]
	v_fma_f64 v[125:126], v[109:110], v[93:94], -v[9:10]
	v_mul_f64_e32 v[9:10], v[109:110], v[95:96]
	s_delay_alu instid0(VALU_DEP_1) | instskip(SKIP_3) | instid1(VALU_DEP_1)
	v_fma_f64 v[129:130], v[111:112], v[93:94], v[9:10]
	ds_load_b128 v[109:112], v238 offset:36864
	s_wait_dscnt 0x0
	v_mul_f64_e32 v[9:10], v[111:112], v[91:92]
	v_fma_f64 v[127:128], v[109:110], v[89:90], -v[9:10]
	v_mul_f64_e32 v[9:10], v[109:110], v[91:92]
	s_delay_alu instid0(VALU_DEP_2) | instskip(NEXT) | instid1(VALU_DEP_2)
	v_add_f64_e64 v[37:38], v[105:106], -v[127:128]
	v_fma_f64 v[141:142], v[111:112], v[89:90], v[9:10]
	v_mul_f64_e32 v[9:10], v[133:134], v[87:88]
	s_delay_alu instid0(VALU_DEP_2) | instskip(NEXT) | instid1(VALU_DEP_2)
	v_add_f64_e64 v[35:36], v[107:108], -v[141:142]
	v_fma_f64 v[109:110], v[131:132], v[85:86], -v[9:10]
	v_mul_f64_e32 v[9:10], v[131:132], v[87:88]
	s_delay_alu instid0(VALU_DEP_1) | instskip(SKIP_1) | instid1(VALU_DEP_1)
	v_fma_f64 v[111:112], v[133:134], v[85:86], v[9:10]
	v_mul_f64_e32 v[9:10], v[145:146], v[95:96]
	v_fma_f64 v[131:132], v[143:144], v[93:94], -v[9:10]
	v_mul_f64_e32 v[9:10], v[143:144], v[95:96]
	s_delay_alu instid0(VALU_DEP_1) | instskip(SKIP_3) | instid1(VALU_DEP_1)
	v_fma_f64 v[139:140], v[145:146], v[93:94], v[9:10]
	ds_load_b128 v[143:146], v238 offset:38912
	s_wait_dscnt 0x0
	v_mul_f64_e32 v[9:10], v[145:146], v[91:92]
	v_fma_f64 v[133:134], v[143:144], v[89:90], -v[9:10]
	v_mul_f64_e32 v[9:10], v[143:144], v[91:92]
	s_delay_alu instid0(VALU_DEP_2) | instskip(NEXT) | instid1(VALU_DEP_2)
	v_add_f64_e64 v[45:46], v[109:110], -v[133:134]
	v_fma_f64 v[143:144], v[145:146], v[89:90], v[9:10]
	ds_load_b128 v[145:148], v238
	ds_load_b128 v[153:156], v238 offset:2048
	ds_load_b128 v[161:164], v238 offset:8192
	;; [unrolled: 1-line block ×4, first 2 shown]
	global_wb scope:SCOPE_SE
	s_wait_dscnt 0x0
	s_barrier_signal -1
	s_barrier_wait -1
	global_inv scope:SCOPE_SE
	v_add_f64_e64 v[0:1], v[153:154], -v[113:114]
	v_add_f64_e64 v[3:4], v[145:146], -v[3:4]
	;; [unrolled: 1-line block ×6, first 2 shown]
	v_fma_f64 v[9:10], v[145:146], 2.0, -v[3:4]
	v_add_f64_e64 v[145:146], v[3:4], -v[7:8]
	v_fma_f64 v[11:12], v[147:148], 2.0, -v[5:6]
	v_add_f64_e32 v[147:148], v[5:6], v[13:14]
	v_fma_f64 v[25:26], v[167:168], 2.0, -v[21:22]
	v_fma_f64 v[7:8], v[83:84], 2.0, -v[7:8]
	;; [unrolled: 1-line block ×3, first 2 shown]
	v_add_f64_e64 v[3:4], v[155:156], -v[121:122]
	v_fma_f64 v[151:152], v[5:6], 2.0, -v[147:148]
	ds_store_b128 v242, v[145:148] offset:192
	v_fma_f64 v[5:6], v[153:154], 2.0, -v[0:1]
	v_fma_f64 v[145:146], v[0:1], 2.0, -v[113:114]
	v_lshlrev_b32_e32 v1, 2, v209
	v_add_f64_e64 v[83:84], v[11:12], -v[7:8]
	v_fma_f64 v[7:8], v[99:100], 2.0, -v[17:18]
	s_delay_alu instid0(VALU_DEP_3) | instskip(NEXT) | instid1(VALU_DEP_1)
	v_and_or_b32 v0, 0x3f0, v1, v2
	v_lshlrev_b32_e32 v248, 4, v0
	v_and_or_b32 v0, 0x5f0, v159, v2
	s_delay_alu instid0(VALU_DEP_1) | instskip(SKIP_1) | instid1(VALU_DEP_1)
	v_lshlrev_b32_e32 v249, 4, v0
	v_and_or_b32 v0, 0x7f0, v157, v2
	v_lshlrev_b32_e32 v241, 4, v0
	v_and_or_b32 v0, 0x9f0, v158, v2
	s_delay_alu instid0(VALU_DEP_1) | instskip(SKIP_2) | instid1(VALU_DEP_2)
	v_lshlrev_b32_e32 v250, 4, v0
	v_add_f64_e32 v[115:116], v[3:4], v[19:20]
	v_fma_f64 v[15:16], v[155:156], 2.0, -v[3:4]
	v_fma_f64 v[147:148], v[3:4], 2.0, -v[115:116]
	v_add_f64_e64 v[3:4], v[165:166], -v[117:118]
	ds_store_b128 v248, v[113:116] offset:192
	v_add_f64_e32 v[115:116], v[21:22], v[29:30]
	v_add_f64_e64 v[113:114], v[3:4], -v[27:28]
	v_fma_f64 v[23:24], v[165:166], 2.0, -v[3:4]
	s_delay_alu instid0(VALU_DEP_3) | instskip(SKIP_1) | instid1(VALU_DEP_4)
	v_fma_f64 v[119:120], v[21:22], 2.0, -v[115:116]
	v_add_f64_e64 v[21:22], v[171:172], -v[129:130]
	v_fma_f64 v[117:118], v[3:4], 2.0, -v[113:114]
	v_add_f64_e64 v[3:4], v[169:170], -v[125:126]
	ds_store_b128 v249, v[113:116] offset:192
	v_add_f64_e32 v[115:116], v[21:22], v[37:38]
	v_fma_f64 v[33:34], v[171:172], 2.0, -v[21:22]
	v_add_f64_e64 v[113:114], v[3:4], -v[35:36]
	v_fma_f64 v[31:32], v[169:170], 2.0, -v[3:4]
	s_delay_alu instid0(VALU_DEP_4) | instskip(SKIP_1) | instid1(VALU_DEP_4)
	v_fma_f64 v[123:124], v[21:22], 2.0, -v[115:116]
	v_add_f64_e64 v[21:22], v[163:164], -v[139:140]
	v_fma_f64 v[121:122], v[3:4], 2.0, -v[113:114]
	v_add_f64_e64 v[3:4], v[161:162], -v[131:132]
	ds_store_b128 v241, v[113:116] offset:192
	v_add_f64_e32 v[115:116], v[21:22], v[45:46]
	v_fma_f64 v[41:42], v[163:164], 2.0, -v[21:22]
	v_add_f64_e64 v[113:114], v[3:4], -v[43:44]
	v_fma_f64 v[39:40], v[161:162], 2.0, -v[3:4]
	s_delay_alu instid0(VALU_DEP_4) | instskip(NEXT) | instid1(VALU_DEP_3)
	v_fma_f64 v[127:128], v[21:22], 2.0, -v[115:116]
	v_fma_f64 v[125:126], v[3:4], 2.0, -v[113:114]
	;; [unrolled: 1-line block ×3, first 2 shown]
	s_delay_alu instid0(VALU_DEP_1)
	v_add_f64_e64 v[81:82], v[9:10], -v[2:3]
	v_fma_f64 v[2:3], v[97:98], 2.0, -v[19:20]
	ds_store_b128 v250, v[113:116] offset:192
	v_fma_f64 v[115:116], v[11:12], 2.0, -v[83:84]
	ds_store_b128 v242, v[81:84] offset:128
	v_fma_f64 v[113:114], v[9:10], 2.0, -v[81:82]
	v_add_f64_e64 v[81:82], v[5:6], -v[2:3]
	v_add_f64_e64 v[83:84], v[15:16], -v[7:8]
	v_fma_f64 v[2:3], v[101:102], 2.0, -v[29:30]
	s_delay_alu instid0(VALU_DEP_3) | instskip(SKIP_1) | instid1(VALU_DEP_4)
	v_fma_f64 v[97:98], v[5:6], 2.0, -v[81:82]
	v_fma_f64 v[4:5], v[103:104], 2.0, -v[27:28]
	;; [unrolled: 1-line block ×3, first 2 shown]
	ds_store_b128 v248, v[81:84] offset:128
	v_add_f64_e64 v[81:82], v[23:24], -v[2:3]
	v_fma_f64 v[2:3], v[105:106], 2.0, -v[37:38]
	v_add_f64_e64 v[83:84], v[25:26], -v[4:5]
	v_fma_f64 v[4:5], v[107:108], 2.0, -v[35:36]
	s_delay_alu instid0(VALU_DEP_4) | instskip(NEXT) | instid1(VALU_DEP_3)
	v_fma_f64 v[101:102], v[23:24], 2.0, -v[81:82]
	v_fma_f64 v[103:104], v[25:26], 2.0, -v[83:84]
	ds_store_b128 v249, v[81:84] offset:128
	v_add_f64_e64 v[81:82], v[31:32], -v[2:3]
	v_add_f64_e64 v[83:84], v[33:34], -v[4:5]
	v_fma_f64 v[2:3], v[109:110], 2.0, -v[45:46]
	v_fma_f64 v[4:5], v[111:112], 2.0, -v[43:44]
	s_delay_alu instid0(VALU_DEP_4) | instskip(NEXT) | instid1(VALU_DEP_4)
	v_fma_f64 v[105:106], v[31:32], 2.0, -v[81:82]
	v_fma_f64 v[107:108], v[33:34], 2.0, -v[83:84]
	ds_store_b128 v241, v[81:84] offset:128
	v_add_f64_e64 v[81:82], v[39:40], -v[2:3]
	v_add_f64_e64 v[83:84], v[41:42], -v[4:5]
	v_and_b32_e32 v2, 15, v240
	s_delay_alu instid0(VALU_DEP_1) | instskip(SKIP_1) | instid1(VALU_DEP_1)
	v_mad_co_u64_u32 v[3:4], null, v2, 48, s[10:11]
	v_and_or_b32 v0, 0x1c0, v160, v2
	v_lshlrev_b32_e32 v254, 4, v0
	v_and_or_b32 v0, 0x3c0, v1, v2
	s_delay_alu instid0(VALU_DEP_1)
	v_lshlrev_b32_e32 v255, 4, v0
	v_fma_f64 v[109:110], v[39:40], 2.0, -v[81:82]
	v_fma_f64 v[111:112], v[41:42], 2.0, -v[83:84]
	ds_store_b128 v250, v[81:84] offset:128
	ds_store_b128 v242, v[149:152] offset:64
	ds_store_b128 v248, v[145:148] offset:64
	ds_store_b128 v249, v[117:120] offset:64
	ds_store_b128 v241, v[121:124] offset:64
	ds_store_b128 v250, v[125:128] offset:64
	ds_store_b128 v242, v[113:116]
	ds_store_b128 v248, v[97:100]
	;; [unrolled: 1-line block ×5, first 2 shown]
	global_wb scope:SCOPE_SE
	s_wait_dscnt 0x0
	s_barrier_signal -1
	s_barrier_wait -1
	global_inv scope:SCOPE_SE
	s_clause 0x1
	global_load_b128 v[97:100], v[3:4], off offset:192
	global_load_b128 v[105:108], v[3:4], off offset:208
	ds_load_b128 v[101:104], v238 offset:10240
	ds_load_b128 v[109:112], v238 offset:30720
	;; [unrolled: 1-line block ×4, first 2 shown]
	s_wait_loadcnt_dscnt 0x103
	v_mul_f64_e32 v[5:6], v[103:104], v[99:100]
	s_delay_alu instid0(VALU_DEP_1) | instskip(SKIP_1) | instid1(VALU_DEP_1)
	v_fma_f64 v[81:82], v[101:102], v[97:98], -v[5:6]
	v_mul_f64_e32 v[5:6], v[101:102], v[99:100]
	v_fma_f64 v[83:84], v[103:104], v[97:98], v[5:6]
	ds_load_b128 v[101:104], v238 offset:20480
	s_wait_loadcnt_dscnt 0x0
	v_mul_f64_e32 v[5:6], v[103:104], v[107:108]
	v_mul_f64_e32 v[7:8], v[101:102], v[107:108]
	s_delay_alu instid0(VALU_DEP_2) | instskip(NEXT) | instid1(VALU_DEP_2)
	v_fma_f64 v[5:6], v[101:102], v[105:106], -v[5:6]
	v_fma_f64 v[7:8], v[103:104], v[105:106], v[7:8]
	global_load_b128 v[101:104], v[3:4], off offset:224
	s_wait_loadcnt 0x0
	v_mul_f64_e32 v[9:10], v[109:110], v[103:104]
	v_mul_f64_e32 v[3:4], v[111:112], v[103:104]
	s_delay_alu instid0(VALU_DEP_2)
	v_fma_f64 v[9:10], v[111:112], v[101:102], v[9:10]
	ds_load_b128 v[111:114], v238 offset:12288
	v_fma_f64 v[3:4], v[109:110], v[101:102], -v[3:4]
	s_wait_dscnt 0x0
	v_mul_f64_e32 v[11:12], v[113:114], v[99:100]
	v_add_f64_e64 v[9:10], v[83:84], -v[9:10]
	s_delay_alu instid0(VALU_DEP_3) | instskip(NEXT) | instid1(VALU_DEP_3)
	v_add_f64_e64 v[3:4], v[81:82], -v[3:4]
	v_fma_f64 v[109:110], v[111:112], v[97:98], -v[11:12]
	v_mul_f64_e32 v[11:12], v[111:112], v[99:100]
	s_delay_alu instid0(VALU_DEP_1) | instskip(SKIP_3) | instid1(VALU_DEP_1)
	v_fma_f64 v[111:112], v[113:114], v[97:98], v[11:12]
	ds_load_b128 v[113:116], v238 offset:22528
	s_wait_dscnt 0x0
	v_mul_f64_e32 v[11:12], v[115:116], v[107:108]
	v_fma_f64 v[125:126], v[113:114], v[105:106], -v[11:12]
	v_mul_f64_e32 v[11:12], v[113:114], v[107:108]
	s_delay_alu instid0(VALU_DEP_1) | instskip(SKIP_3) | instid1(VALU_DEP_1)
	v_fma_f64 v[129:130], v[115:116], v[105:106], v[11:12]
	ds_load_b128 v[113:116], v238 offset:32768
	s_wait_dscnt 0x0
	v_mul_f64_e32 v[11:12], v[115:116], v[103:104]
	v_fma_f64 v[127:128], v[113:114], v[101:102], -v[11:12]
	v_mul_f64_e32 v[11:12], v[113:114], v[103:104]
	s_delay_alu instid0(VALU_DEP_2) | instskip(NEXT) | instid1(VALU_DEP_2)
	v_add_f64_e64 v[21:22], v[109:110], -v[127:128]
	v_fma_f64 v[141:142], v[115:116], v[101:102], v[11:12]
	ds_load_b128 v[115:118], v238 offset:14336
	s_wait_dscnt 0x0
	v_mul_f64_e32 v[11:12], v[117:118], v[99:100]
	v_add_f64_e64 v[19:20], v[111:112], -v[141:142]
	s_delay_alu instid0(VALU_DEP_2) | instskip(SKIP_1) | instid1(VALU_DEP_1)
	v_fma_f64 v[113:114], v[115:116], v[97:98], -v[11:12]
	v_mul_f64_e32 v[11:12], v[115:116], v[99:100]
	v_fma_f64 v[115:116], v[117:118], v[97:98], v[11:12]
	ds_load_b128 v[117:120], v238 offset:24576
	s_wait_dscnt 0x0
	v_mul_f64_e32 v[11:12], v[119:120], v[107:108]
	s_delay_alu instid0(VALU_DEP_1) | instskip(SKIP_1) | instid1(VALU_DEP_1)
	v_fma_f64 v[131:132], v[117:118], v[105:106], -v[11:12]
	v_mul_f64_e32 v[11:12], v[117:118], v[107:108]
	v_fma_f64 v[135:136], v[119:120], v[105:106], v[11:12]
	ds_load_b128 v[117:120], v238 offset:34816
	s_wait_dscnt 0x0
	v_mul_f64_e32 v[11:12], v[119:120], v[103:104]
	s_delay_alu instid0(VALU_DEP_1) | instskip(SKIP_1) | instid1(VALU_DEP_2)
	v_fma_f64 v[133:134], v[117:118], v[101:102], -v[11:12]
	v_mul_f64_e32 v[11:12], v[117:118], v[103:104]
	v_add_f64_e64 v[27:28], v[113:114], -v[133:134]
	s_delay_alu instid0(VALU_DEP_2) | instskip(SKIP_4) | instid1(VALU_DEP_2)
	v_fma_f64 v[149:150], v[119:120], v[101:102], v[11:12]
	ds_load_b128 v[119:122], v238 offset:16384
	s_wait_dscnt 0x0
	v_mul_f64_e32 v[11:12], v[121:122], v[99:100]
	v_add_f64_e64 v[25:26], v[115:116], -v[149:150]
	v_fma_f64 v[117:118], v[119:120], v[97:98], -v[11:12]
	v_mul_f64_e32 v[11:12], v[119:120], v[99:100]
	s_delay_alu instid0(VALU_DEP_1) | instskip(SKIP_3) | instid1(VALU_DEP_1)
	v_fma_f64 v[119:120], v[121:122], v[97:98], v[11:12]
	ds_load_b128 v[121:124], v238 offset:26624
	s_wait_dscnt 0x0
	v_mul_f64_e32 v[11:12], v[123:124], v[107:108]
	v_fma_f64 v[137:138], v[121:122], v[105:106], -v[11:12]
	v_mul_f64_e32 v[11:12], v[121:122], v[107:108]
	s_delay_alu instid0(VALU_DEP_1) | instskip(SKIP_3) | instid1(VALU_DEP_1)
	v_fma_f64 v[143:144], v[123:124], v[105:106], v[11:12]
	ds_load_b128 v[121:124], v238 offset:36864
	s_wait_dscnt 0x0
	v_mul_f64_e32 v[11:12], v[123:124], v[103:104]
	v_fma_f64 v[139:140], v[121:122], v[101:102], -v[11:12]
	v_mul_f64_e32 v[11:12], v[121:122], v[103:104]
	s_delay_alu instid0(VALU_DEP_2) | instskip(NEXT) | instid1(VALU_DEP_2)
	v_add_f64_e64 v[35:36], v[117:118], -v[139:140]
	v_fma_f64 v[153:154], v[123:124], v[101:102], v[11:12]
	v_mul_f64_e32 v[11:12], v[147:148], v[99:100]
	s_delay_alu instid0(VALU_DEP_2) | instskip(NEXT) | instid1(VALU_DEP_2)
	v_add_f64_e64 v[33:34], v[119:120], -v[153:154]
	v_fma_f64 v[121:122], v[145:146], v[97:98], -v[11:12]
	v_mul_f64_e32 v[11:12], v[145:146], v[99:100]
	s_delay_alu instid0(VALU_DEP_1) | instskip(SKIP_1) | instid1(VALU_DEP_1)
	v_fma_f64 v[123:124], v[147:148], v[97:98], v[11:12]
	v_mul_f64_e32 v[11:12], v[163:164], v[107:108]
	v_fma_f64 v[145:146], v[161:162], v[105:106], -v[11:12]
	v_mul_f64_e32 v[11:12], v[161:162], v[107:108]
	s_delay_alu instid0(VALU_DEP_1) | instskip(SKIP_3) | instid1(VALU_DEP_1)
	v_fma_f64 v[151:152], v[163:164], v[105:106], v[11:12]
	ds_load_b128 v[161:164], v238 offset:38912
	s_wait_dscnt 0x0
	v_mul_f64_e32 v[11:12], v[163:164], v[103:104]
	v_fma_f64 v[147:148], v[161:162], v[101:102], -v[11:12]
	v_mul_f64_e32 v[11:12], v[161:162], v[103:104]
	s_delay_alu instid0(VALU_DEP_2) | instskip(NEXT) | instid1(VALU_DEP_2)
	v_add_f64_e64 v[43:44], v[121:122], -v[147:148]
	v_fma_f64 v[155:156], v[163:164], v[101:102], v[11:12]
	ds_load_b128 v[161:164], v238
	ds_load_b128 v[169:172], v238 offset:2048
	ds_load_b128 v[173:176], v238 offset:8192
	;; [unrolled: 1-line block ×4, first 2 shown]
	global_wb scope:SCOPE_SE
	s_wait_dscnt 0x0
	s_barrier_signal -1
	s_barrier_wait -1
	global_inv scope:SCOPE_SE
	v_add_f64_e64 v[5:6], v[161:162], -v[5:6]
	v_add_f64_e64 v[7:8], v[163:164], -v[7:8]
	v_add_f64_e64 v[0:1], v[177:178], -v[131:132]
	v_add_f64_e64 v[41:42], v[123:124], -v[155:156]
	s_delay_alu instid0(VALU_DEP_4) | instskip(NEXT) | instid1(VALU_DEP_4)
	v_fma_f64 v[11:12], v[161:162], 2.0, -v[5:6]
	v_fma_f64 v[13:14], v[163:164], 2.0, -v[7:8]
	v_add_f64_e64 v[161:162], v[5:6], -v[9:10]
	v_add_f64_e32 v[163:164], v[7:8], v[3:4]
	s_delay_alu instid0(VALU_DEP_2) | instskip(NEXT) | instid1(VALU_DEP_2)
	v_fma_f64 v[165:166], v[5:6], 2.0, -v[161:162]
	v_fma_f64 v[167:168], v[7:8], 2.0, -v[163:164]
	v_add_f64_e64 v[5:6], v[169:170], -v[125:126]
	v_add_f64_e64 v[7:8], v[171:172], -v[129:130]
	s_delay_alu instid0(VALU_DEP_2) | instskip(NEXT) | instid1(VALU_DEP_2)
	v_add_f64_e64 v[125:126], v[5:6], -v[19:20]
	v_add_f64_e32 v[127:128], v[7:8], v[21:22]
	ds_store_b128 v254, v[161:164] offset:768
	v_fma_f64 v[15:16], v[169:170], 2.0, -v[5:6]
	v_fma_f64 v[17:18], v[171:172], 2.0, -v[7:8]
	;; [unrolled: 1-line block ×3, first 2 shown]
	ds_store_b128 v255, v[125:128] offset:768
	v_add_f64_e64 v[125:126], v[0:1], -v[25:26]
	v_add_f64_e64 v[5:6], v[179:180], -v[135:136]
	v_fma_f64 v[162:163], v[7:8], 2.0, -v[127:128]
	v_fma_f64 v[7:8], v[177:178], 2.0, -v[0:1]
	s_delay_alu instid0(VALU_DEP_4) | instskip(SKIP_3) | instid1(VALU_DEP_3)
	v_fma_f64 v[129:130], v[0:1], 2.0, -v[125:126]
	v_and_or_b32 v0, 0x5c0, v159, v2
	v_add_f64_e32 v[127:128], v[5:6], v[27:28]
	v_fma_f64 v[23:24], v[179:180], 2.0, -v[5:6]
	v_lshlrev_b32_e32 v253, 4, v0
	v_add_f64_e64 v[0:1], v[181:182], -v[137:138]
	ds_store_b128 v253, v[125:128] offset:768
	v_fma_f64 v[131:132], v[5:6], 2.0, -v[127:128]
	v_add_f64_e64 v[5:6], v[183:184], -v[143:144]
	v_add_f64_e64 v[125:126], v[0:1], -v[33:34]
	v_fma_f64 v[29:30], v[181:182], 2.0, -v[0:1]
	s_delay_alu instid0(VALU_DEP_3) | instskip(SKIP_1) | instid1(VALU_DEP_4)
	v_add_f64_e32 v[127:128], v[5:6], v[35:36]
	v_fma_f64 v[31:32], v[183:184], 2.0, -v[5:6]
	v_fma_f64 v[133:134], v[0:1], 2.0, -v[125:126]
	v_and_or_b32 v0, 0x7c0, v157, v2
	s_delay_alu instid0(VALU_DEP_1)
	v_lshlrev_b32_e32 v252, 4, v0
	v_add_f64_e64 v[0:1], v[173:174], -v[145:146]
	ds_store_b128 v252, v[125:128] offset:768
	v_fma_f64 v[135:136], v[5:6], 2.0, -v[127:128]
	v_add_f64_e64 v[5:6], v[175:176], -v[151:152]
	v_add_f64_e64 v[125:126], v[0:1], -v[41:42]
	v_fma_f64 v[37:38], v[173:174], 2.0, -v[0:1]
	s_delay_alu instid0(VALU_DEP_3) | instskip(SKIP_1) | instid1(VALU_DEP_4)
	v_add_f64_e32 v[127:128], v[5:6], v[43:44]
	v_fma_f64 v[39:40], v[175:176], 2.0, -v[5:6]
	v_fma_f64 v[137:138], v[0:1], 2.0, -v[125:126]
	v_and_or_b32 v0, 0x9c0, v158, v2
	s_delay_alu instid0(VALU_DEP_1) | instskip(SKIP_4) | instid1(VALU_DEP_4)
	v_lshlrev_b32_e32 v251, 4, v0
	v_fma_f64 v[0:1], v[81:82], 2.0, -v[3:4]
	v_fma_f64 v[3:4], v[83:84], 2.0, -v[9:10]
	;; [unrolled: 1-line block ×3, first 2 shown]
	v_and_b32_e32 v5, 63, v240
	v_add_f64_e64 v[1:2], v[11:12], -v[0:1]
	s_delay_alu instid0(VALU_DEP_4) | instskip(NEXT) | instid1(VALU_DEP_2)
	v_add_f64_e64 v[3:4], v[13:14], -v[3:4]
	v_fma_f64 v[81:82], v[11:12], 2.0, -v[1:2]
	s_delay_alu instid0(VALU_DEP_2) | instskip(SKIP_3) | instid1(VALU_DEP_2)
	v_fma_f64 v[83:84], v[13:14], 2.0, -v[3:4]
	ds_store_b128 v254, v[1:4] offset:512
	v_fma_f64 v[0:1], v[109:110], 2.0, -v[21:22]
	v_fma_f64 v[3:4], v[111:112], 2.0, -v[19:20]
	v_add_f64_e64 v[1:2], v[15:16], -v[0:1]
	s_delay_alu instid0(VALU_DEP_2) | instskip(NEXT) | instid1(VALU_DEP_2)
	v_add_f64_e64 v[3:4], v[17:18], -v[3:4]
	v_fma_f64 v[109:110], v[15:16], 2.0, -v[1:2]
	s_delay_alu instid0(VALU_DEP_2) | instskip(SKIP_3) | instid1(VALU_DEP_2)
	v_fma_f64 v[111:112], v[17:18], 2.0, -v[3:4]
	ds_store_b128 v255, v[1:4] offset:512
	v_fma_f64 v[0:1], v[113:114], 2.0, -v[27:28]
	v_fma_f64 v[3:4], v[115:116], 2.0, -v[25:26]
	v_add_f64_e64 v[1:2], v[7:8], -v[0:1]
	s_delay_alu instid0(VALU_DEP_2) | instskip(NEXT) | instid1(VALU_DEP_2)
	v_add_f64_e64 v[3:4], v[23:24], -v[3:4]
	v_fma_f64 v[113:114], v[7:8], 2.0, -v[1:2]
	s_delay_alu instid0(VALU_DEP_2) | instskip(SKIP_3) | instid1(VALU_DEP_2)
	v_fma_f64 v[115:116], v[23:24], 2.0, -v[3:4]
	ds_store_b128 v253, v[1:4] offset:512
	v_fma_f64 v[0:1], v[117:118], 2.0, -v[35:36]
	v_fma_f64 v[3:4], v[119:120], 2.0, -v[33:34]
	v_add_f64_e64 v[1:2], v[29:30], -v[0:1]
	s_delay_alu instid0(VALU_DEP_2)
	v_add_f64_e64 v[3:4], v[31:32], -v[3:4]
	ds_store_b128 v251, v[125:128] offset:768
	v_fma_f64 v[117:118], v[29:30], 2.0, -v[1:2]
	ds_store_b128 v252, v[1:4] offset:512
	v_fma_f64 v[119:120], v[31:32], 2.0, -v[3:4]
	v_fma_f64 v[0:1], v[121:122], 2.0, -v[43:44]
	;; [unrolled: 1-line block ×3, first 2 shown]
	s_delay_alu instid0(VALU_DEP_2) | instskip(NEXT) | instid1(VALU_DEP_2)
	v_add_f64_e64 v[1:2], v[37:38], -v[0:1]
	v_add_f64_e64 v[3:4], v[39:40], -v[3:4]
	s_delay_alu instid0(VALU_DEP_2) | instskip(NEXT) | instid1(VALU_DEP_2)
	v_fma_f64 v[121:122], v[37:38], 2.0, -v[1:2]
	v_fma_f64 v[123:124], v[39:40], 2.0, -v[3:4]
	ds_store_b128 v251, v[1:4] offset:512
	ds_store_b128 v254, v[165:168] offset:256
	;; [unrolled: 1-line block ×6, first 2 shown]
	ds_store_b128 v254, v[81:84]
	ds_store_b128 v255, v[109:112]
	;; [unrolled: 1-line block ×5, first 2 shown]
	v_mad_co_u64_u32 v[0:1], null, 0x90, v5, s[10:11]
	global_wb scope:SCOPE_SE
	s_wait_dscnt 0x0
	s_barrier_signal -1
	s_barrier_wait -1
	global_inv scope:SCOPE_SE
	ds_load_b128 v[81:84], v238 offset:4096
	ds_load_b128 v[141:144], v238 offset:36864
	s_clause 0x7
	global_load_b128 v[109:112], v[0:1], off offset:960
	global_load_b128 v[137:140], v[0:1], off offset:976
	;; [unrolled: 1-line block ×8, first 2 shown]
	s_wait_loadcnt_dscnt 0x701
	v_mul_f64_e32 v[2:3], v[83:84], v[111:112]
	s_delay_alu instid0(VALU_DEP_1) | instskip(SKIP_1) | instid1(VALU_DEP_1)
	v_fma_f64 v[161:162], v[81:82], v[109:110], -v[2:3]
	v_mul_f64_e32 v[2:3], v[81:82], v[111:112]
	v_fma_f64 v[167:168], v[83:84], v[109:110], v[2:3]
	ds_load_b128 v[81:84], v238 offset:8192
	s_wait_loadcnt_dscnt 0x600
	v_mul_f64_e32 v[2:3], v[83:84], v[139:140]
	s_delay_alu instid0(VALU_DEP_1) | instskip(SKIP_1) | instid1(VALU_DEP_1)
	v_fma_f64 v[179:180], v[81:82], v[137:138], -v[2:3]
	v_mul_f64_e32 v[2:3], v[81:82], v[139:140]
	v_fma_f64 v[183:184], v[83:84], v[137:138], v[2:3]
	ds_load_b128 v[81:84], v238 offset:12288
	s_wait_loadcnt_dscnt 0x500
	v_mul_f64_e32 v[2:3], v[83:84], v[127:128]
	s_delay_alu instid0(VALU_DEP_1) | instskip(SKIP_1) | instid1(VALU_DEP_2)
	v_fma_f64 v[181:182], v[81:82], v[125:126], -v[2:3]
	v_mul_f64_e32 v[2:3], v[81:82], v[127:128]
	v_add_f64_e32 v[6:7], v[161:162], v[181:182]
	s_delay_alu instid0(VALU_DEP_2) | instskip(SKIP_4) | instid1(VALU_DEP_2)
	v_fma_f64 v[187:188], v[83:84], v[125:126], v[2:3]
	ds_load_b128 v[81:84], v238 offset:16384
	s_wait_loadcnt_dscnt 0x400
	v_mul_f64_e32 v[2:3], v[83:84], v[123:124]
	v_add_f64_e32 v[8:9], v[167:168], v[187:188]
	v_fma_f64 v[189:190], v[81:82], v[121:122], -v[2:3]
	v_mul_f64_e32 v[2:3], v[81:82], v[123:124]
	s_delay_alu instid0(VALU_DEP_1) | instskip(SKIP_3) | instid1(VALU_DEP_1)
	v_fma_f64 v[191:192], v[83:84], v[121:122], v[2:3]
	ds_load_b128 v[81:84], v238 offset:20480
	s_wait_loadcnt_dscnt 0x300
	v_mul_f64_e32 v[2:3], v[83:84], v[119:120]
	v_fma_f64 v[193:194], v[81:82], v[117:118], -v[2:3]
	v_mul_f64_e32 v[2:3], v[81:82], v[119:120]
	s_delay_alu instid0(VALU_DEP_2) | instskip(NEXT) | instid1(VALU_DEP_2)
	v_add_f64_e32 v[6:7], v[6:7], v[193:194]
	v_fma_f64 v[195:196], v[83:84], v[117:118], v[2:3]
	ds_load_b128 v[81:84], v238 offset:24576
	s_wait_loadcnt_dscnt 0x200
	v_mul_f64_e32 v[2:3], v[83:84], v[131:132]
	v_add_f64_e32 v[8:9], v[8:9], v[195:196]
	v_add_f64_e64 v[42:43], v[195:196], -v[187:188]
	s_delay_alu instid0(VALU_DEP_3) | instskip(SKIP_1) | instid1(VALU_DEP_2)
	v_fma_f64 v[197:198], v[81:82], v[129:130], -v[2:3]
	v_mul_f64_e32 v[2:3], v[81:82], v[131:132]
	v_add_f64_e64 v[36:37], v[189:190], -v[197:198]
	s_delay_alu instid0(VALU_DEP_2) | instskip(SKIP_4) | instid1(VALU_DEP_2)
	v_fma_f64 v[199:200], v[83:84], v[129:130], v[2:3]
	ds_load_b128 v[81:84], v238 offset:28672
	s_wait_loadcnt_dscnt 0x100
	v_mul_f64_e32 v[2:3], v[83:84], v[115:116]
	v_add_f64_e64 v[32:33], v[191:192], -v[199:200]
	v_fma_f64 v[201:202], v[81:82], v[113:114], -v[2:3]
	v_mul_f64_e32 v[2:3], v[81:82], v[115:116]
	s_delay_alu instid0(VALU_DEP_2) | instskip(NEXT) | instid1(VALU_DEP_2)
	v_add_f64_e32 v[6:7], v[6:7], v[201:202]
	v_fma_f64 v[203:204], v[83:84], v[113:114], v[2:3]
	ds_load_b128 v[81:84], v238 offset:32768
	v_add_f64_e64 v[20:21], v[193:194], -v[201:202]
	s_wait_loadcnt_dscnt 0x0
	v_mul_f64_e32 v[2:3], v[83:84], v[135:136]
	v_add_f64_e32 v[8:9], v[8:9], v[203:204]
	v_add_f64_e64 v[24:25], v[195:196], -v[203:204]
	s_delay_alu instid0(VALU_DEP_3) | instskip(SKIP_1) | instid1(VALU_DEP_2)
	v_fma_f64 v[205:206], v[81:82], v[133:134], -v[2:3]
	v_mul_f64_e32 v[2:3], v[81:82], v[135:136]
	v_add_f64_e64 v[34:35], v[179:180], -v[205:206]
	s_delay_alu instid0(VALU_DEP_2) | instskip(SKIP_4) | instid1(VALU_DEP_1)
	v_fma_f64 v[207:208], v[83:84], v[133:134], v[2:3]
	global_load_b128 v[81:84], v[0:1], off offset:1088
	v_add_f64_e64 v[30:31], v[183:184], -v[207:208]
	s_wait_loadcnt 0x0
	v_mul_f64_e32 v[0:1], v[143:144], v[83:84]
	v_fma_f64 v[210:211], v[141:142], v[81:82], -v[0:1]
	v_mul_f64_e32 v[0:1], v[141:142], v[83:84]
	s_delay_alu instid0(VALU_DEP_2) | instskip(NEXT) | instid1(VALU_DEP_2)
	v_add_f64_e32 v[6:7], v[6:7], v[210:211]
	v_fma_f64 v[212:213], v[143:144], v[81:82], v[0:1]
	ds_load_b128 v[141:144], v238 offset:6144
	v_add_f64_e64 v[18:19], v[181:182], -v[210:211]
	s_wait_dscnt 0x0
	v_mul_f64_e32 v[0:1], v[143:144], v[111:112]
	v_add_f64_e32 v[8:9], v[8:9], v[212:213]
	v_add_f64_e64 v[22:23], v[187:188], -v[212:213]
	v_add_f64_e32 v[44:45], v[187:188], v[212:213]
	v_add_f64_e64 v[46:47], v[203:204], -v[212:213]
	v_fma_f64 v[149:150], v[141:142], v[109:110], -v[0:1]
	v_mul_f64_e32 v[0:1], v[141:142], v[111:112]
	s_delay_alu instid0(VALU_DEP_4) | instskip(NEXT) | instid1(VALU_DEP_2)
	v_fma_f64 v[44:45], v[44:45], -0.5, v[167:168]
	v_fma_f64 v[151:152], v[143:144], v[109:110], v[0:1]
	ds_load_b128 v[141:144], v238 offset:10240
	s_wait_dscnt 0x0
	v_mul_f64_e32 v[0:1], v[143:144], v[139:140]
	s_delay_alu instid0(VALU_DEP_1) | instskip(SKIP_1) | instid1(VALU_DEP_1)
	v_fma_f64 v[153:154], v[141:142], v[137:138], -v[0:1]
	v_mul_f64_e32 v[0:1], v[141:142], v[139:140]
	v_fma_f64 v[155:156], v[143:144], v[137:138], v[0:1]
	ds_load_b128 v[141:144], v238 offset:14336
	s_wait_dscnt 0x0
	v_mul_f64_e32 v[0:1], v[143:144], v[127:128]
	s_delay_alu instid0(VALU_DEP_1) | instskip(SKIP_1) | instid1(VALU_DEP_1)
	v_fma_f64 v[157:158], v[141:142], v[125:126], -v[0:1]
	v_mul_f64_e32 v[0:1], v[141:142], v[127:128]
	;; [unrolled: 7-line block ×8, first 2 shown]
	v_fma_f64 v[220:221], v[143:144], v[81:82], v[0:1]
	v_add_f64_e32 v[0:1], v[189:190], v[197:198]
	ds_load_b128 v[141:144], v238
	s_wait_dscnt 0x0
	v_add_f64_e32 v[2:3], v[143:144], v[183:184]
	v_fma_f64 v[222:223], v[0:1], -0.5, v[141:142]
	v_add_f64_e32 v[0:1], v[179:180], v[205:206]
	s_delay_alu instid0(VALU_DEP_3) | instskip(NEXT) | instid1(VALU_DEP_2)
	v_add_f64_e32 v[2:3], v[2:3], v[191:192]
	v_fma_f64 v[226:227], v[0:1], -0.5, v[141:142]
	v_add_f64_e32 v[0:1], v[191:192], v[199:200]
	s_delay_alu instid0(VALU_DEP_3) | instskip(NEXT) | instid1(VALU_DEP_2)
	;; [unrolled: 4-line block ×3, first 2 shown]
	v_add_f64_e32 v[12:13], v[2:3], v[207:208]
	v_fma_f64 v[228:229], v[0:1], -0.5, v[143:144]
	v_add_f64_e32 v[0:1], v[141:142], v[179:180]
	ds_load_b128 v[141:144], v238 offset:2048
	global_wb scope:SCOPE_SE
	s_wait_dscnt 0x0
	s_barrier_signal -1
	s_barrier_wait -1
	global_inv scope:SCOPE_SE
	v_add_f64_e32 v[3:4], v[12:13], v[8:9]
	v_add_f64_e64 v[246:247], v[12:13], -v[8:9]
	v_add_f64_e32 v[12:13], v[151:152], v[159:160]
	v_add_f64_e32 v[8:9], v[143:144], v[155:156]
	;; [unrolled: 1-line block ×3, first 2 shown]
	s_delay_alu instid0(VALU_DEP_3) | instskip(NEXT) | instid1(VALU_DEP_3)
	v_add_f64_e32 v[12:13], v[12:13], v[171:172]
	v_add_f64_e32 v[8:9], v[8:9], v[165:166]
	s_delay_alu instid0(VALU_DEP_3) | instskip(NEXT) | instid1(VALU_DEP_3)
	v_add_f64_e32 v[0:1], v[0:1], v[197:198]
	v_add_f64_e32 v[12:13], v[12:13], v[185:186]
	;; [unrolled: 3-line block ×3, first 2 shown]
	v_lshrrev_b32_e32 v0, 6, v240
	s_delay_alu instid0(VALU_DEP_1) | instskip(NEXT) | instid1(VALU_DEP_1)
	v_mul_u32_u24_e32 v0, 0x280, v0
	v_or_b32_e32 v0, v0, v5
	s_delay_alu instid0(VALU_DEP_1)
	v_lshlrev_b32_e32 v243, 4, v0
	v_add_f64_e32 v[12:13], v[12:13], v[220:221]
	v_add_f64_e32 v[8:9], v[8:9], v[218:219]
	;; [unrolled: 1-line block ×3, first 2 shown]
	v_add_f64_e64 v[244:245], v[10:11], -v[6:7]
	v_add_f64_e32 v[6:7], v[163:164], v[175:176]
	v_add_f64_e32 v[10:11], v[149:150], v[157:158]
	ds_store_b128 v243, v[1:4]
	ds_store_b128 v243, v[244:247] offset:5120
	v_add_f64_e64 v[0:1], v[179:180], -v[189:190]
	v_fma_f64 v[230:231], v[6:7], -0.5, v[141:142]
	v_add_f64_e32 v[6:7], v[153:154], v[216:217]
	v_add_f64_e32 v[10:11], v[10:11], v[169:170]
	v_add_f64_e64 v[2:3], v[205:206], -v[197:198]
	v_add_f64_e32 v[147:148], v[8:9], v[12:13]
	s_delay_alu instid0(VALU_DEP_4) | instskip(SKIP_2) | instid1(VALU_DEP_2)
	v_fma_f64 v[236:237], v[6:7], -0.5, v[141:142]
	v_add_f64_e32 v[6:7], v[165:166], v[177:178]
	v_add_f64_e32 v[10:11], v[10:11], v[173:174]
	v_fma_f64 v[232:233], v[6:7], -0.5, v[143:144]
	v_add_f64_e32 v[6:7], v[155:156], v[218:219]
	s_delay_alu instid0(VALU_DEP_3) | instskip(NEXT) | instid1(VALU_DEP_2)
	v_add_f64_e32 v[10:11], v[10:11], v[214:215]
	v_fma_f64 v[234:235], v[6:7], -0.5, v[143:144]
	v_add_f64_e32 v[6:7], v[141:142], v[153:154]
	v_add_f64_e64 v[143:144], v[8:9], -v[12:13]
	s_delay_alu instid0(VALU_DEP_2) | instskip(NEXT) | instid1(VALU_DEP_1)
	v_add_f64_e32 v[6:7], v[6:7], v[163:164]
	v_add_f64_e32 v[6:7], v[6:7], v[175:176]
	s_delay_alu instid0(VALU_DEP_1) | instskip(NEXT) | instid1(VALU_DEP_1)
	v_add_f64_e32 v[6:7], v[6:7], v[216:217]
	v_add_f64_e32 v[145:146], v[6:7], v[10:11]
	v_add_f64_e64 v[141:142], v[6:7], -v[10:11]
	v_add_f64_e32 v[6:7], v[0:1], v[2:3]
	v_add_f64_e64 v[0:1], v[183:184], -v[191:192]
	v_add_f64_e64 v[2:3], v[207:208], -v[199:200]
	s_delay_alu instid0(VALU_DEP_1) | instskip(SKIP_2) | instid1(VALU_DEP_1)
	v_add_f64_e32 v[8:9], v[0:1], v[2:3]
	v_add_f64_e64 v[0:1], v[181:182], -v[193:194]
	v_add_f64_e64 v[2:3], v[210:211], -v[201:202]
	v_add_f64_e32 v[10:11], v[0:1], v[2:3]
	v_add_f64_e64 v[0:1], v[187:188], -v[195:196]
	v_add_f64_e64 v[2:3], v[212:213], -v[203:204]
	s_delay_alu instid0(VALU_DEP_1) | instskip(SKIP_1) | instid1(VALU_DEP_1)
	v_add_f64_e32 v[12:13], v[0:1], v[2:3]
	v_add_f64_e32 v[0:1], v[193:194], v[201:202]
	v_fma_f64 v[14:15], v[0:1], -0.5, v[161:162]
	v_add_f64_e32 v[0:1], v[195:196], v[203:204]
	s_delay_alu instid0(VALU_DEP_2) | instskip(NEXT) | instid1(VALU_DEP_2)
	v_fma_f64 v[2:3], v[22:23], s[18:19], v[14:15]
	v_fma_f64 v[16:17], v[0:1], -0.5, v[167:168]
	v_fma_f64 v[14:15], v[22:23], s[20:21], v[14:15]
	s_delay_alu instid0(VALU_DEP_3) | instskip(NEXT) | instid1(VALU_DEP_3)
	v_fma_f64 v[2:3], v[24:25], s[12:13], v[2:3]
	v_fma_f64 v[0:1], v[18:19], s[20:21], v[16:17]
	;; [unrolled: 1-line block ×3, first 2 shown]
	s_delay_alu instid0(VALU_DEP_4) | instskip(NEXT) | instid1(VALU_DEP_4)
	v_fma_f64 v[14:15], v[24:25], s[14:15], v[14:15]
	v_fma_f64 v[2:3], v[10:11], s[16:17], v[2:3]
	s_delay_alu instid0(VALU_DEP_4) | instskip(NEXT) | instid1(VALU_DEP_4)
	v_fma_f64 v[0:1], v[20:21], s[14:15], v[0:1]
	v_fma_f64 v[16:17], v[20:21], s[12:13], v[16:17]
	s_delay_alu instid0(VALU_DEP_4) | instskip(NEXT) | instid1(VALU_DEP_3)
	v_fma_f64 v[10:11], v[10:11], s[16:17], v[14:15]
	v_fma_f64 v[0:1], v[12:13], s[16:17], v[0:1]
	s_delay_alu instid0(VALU_DEP_3) | instskip(NEXT) | instid1(VALU_DEP_3)
	v_fma_f64 v[12:13], v[12:13], s[16:17], v[16:17]
	v_mul_f64_e32 v[14:15], s[26:27], v[10:11]
	v_add_f64_e32 v[16:17], v[171:172], v[185:186]
	s_delay_alu instid0(VALU_DEP_4) | instskip(NEXT) | instid1(VALU_DEP_3)
	v_mul_f64_e32 v[26:27], s[12:13], v[0:1]
	v_fma_f64 v[14:15], v[12:13], s[12:13], v[14:15]
	v_mul_f64_e32 v[12:13], s[26:27], v[12:13]
	s_delay_alu instid0(VALU_DEP_4) | instskip(NEXT) | instid1(VALU_DEP_4)
	v_fma_f64 v[16:17], v[16:17], -0.5, v[151:152]
	v_fma_f64 v[26:27], v[2:3], s[22:23], v[26:27]
	v_mul_f64_e32 v[2:3], s[14:15], v[2:3]
	s_delay_alu instid0(VALU_DEP_4) | instskip(SKIP_1) | instid1(VALU_DEP_3)
	v_fma_f64 v[10:11], v[10:11], s[14:15], v[12:13]
	v_add_f64_e64 v[12:13], v[214:215], -v[173:174]
	v_fma_f64 v[28:29], v[0:1], s[22:23], v[2:3]
	v_fma_f64 v[0:1], v[30:31], s[18:19], v[222:223]
	;; [unrolled: 1-line block ×3, first 2 shown]
	s_delay_alu instid0(VALU_DEP_2) | instskip(NEXT) | instid1(VALU_DEP_2)
	v_fma_f64 v[0:1], v[32:33], s[12:13], v[0:1]
	v_fma_f64 v[2:3], v[36:37], s[14:15], v[2:3]
	s_delay_alu instid0(VALU_DEP_2) | instskip(NEXT) | instid1(VALU_DEP_2)
	v_fma_f64 v[38:39], v[6:7], s[16:17], v[0:1]
	v_fma_f64 v[40:41], v[8:9], s[16:17], v[2:3]
	v_lshrrev_b32_e32 v0, 6, v209
	s_delay_alu instid0(VALU_DEP_1) | instskip(NEXT) | instid1(VALU_DEP_1)
	v_mul_u32_u24_e32 v0, 0x280, v0
	v_or_b32_e32 v0, v0, v5
	v_add_f64_e32 v[1:2], v[38:39], v[26:27]
	v_add_f64_e32 v[3:4], v[40:41], v[28:29]
	v_add_f64_e64 v[244:245], v[38:39], -v[26:27]
	v_add_f64_e64 v[246:247], v[40:41], -v[28:29]
	;; [unrolled: 1-line block ×7, first 2 shown]
	v_add_f64_e32 v[181:182], v[181:182], v[210:211]
	v_add_f64_e64 v[183:184], v[201:202], -v[210:211]
	v_add_f64_e32 v[26:27], v[26:27], v[28:29]
	v_add_f64_e32 v[28:29], v[38:39], v[40:41]
	;; [unrolled: 1-line block ×3, first 2 shown]
	v_fma_f64 v[42:43], v[181:182], -0.5, v[161:162]
	v_fma_f64 v[46:47], v[20:21], s[18:19], v[44:45]
	v_add_f64_e32 v[38:39], v[179:180], v[183:184]
	v_fma_f64 v[179:180], v[36:37], s[18:19], v[228:229]
	s_delay_alu instid0(VALU_DEP_4) | instskip(NEXT) | instid1(VALU_DEP_4)
	v_fma_f64 v[161:162], v[24:25], s[20:21], v[42:43]
	v_fma_f64 v[46:47], v[18:19], s[14:15], v[46:47]
	;; [unrolled: 1-line block ×3, first 2 shown]
	s_delay_alu instid0(VALU_DEP_4)
	v_fma_f64 v[179:180], v[34:35], s[14:15], v[179:180]
	v_add_f64_e64 v[24:25], v[159:160], -v[220:221]
	v_fma_f64 v[161:162], v[22:23], s[12:13], v[161:162]
	v_fma_f64 v[46:47], v[40:41], s[16:17], v[46:47]
	;; [unrolled: 1-line block ×6, first 2 shown]
	v_mul_f64_e32 v[167:168], s[18:19], v[46:47]
	v_fma_f64 v[38:39], v[38:39], s[16:17], v[42:43]
	v_fma_f64 v[42:43], v[20:21], s[20:21], v[44:45]
	v_add_f64_e64 v[20:21], v[169:170], -v[173:174]
	v_add_f64_e32 v[44:45], v[159:160], v[220:221]
	v_fma_f64 v[167:168], v[161:162], s[16:17], v[167:168]
	v_mul_f64_e32 v[161:162], s[20:21], v[161:162]
	v_fma_f64 v[42:43], v[18:19], s[12:13], v[42:43]
	v_fma_f64 v[18:19], v[32:33], s[14:15], v[22:23]
	v_fma_f64 v[44:45], v[44:45], -0.5, v[151:152]
	s_delay_alu instid0(VALU_DEP_4)
	v_fma_f64 v[46:47], v[46:47], s[16:17], v[161:162]
	v_fma_f64 v[161:162], v[32:33], s[20:21], v[226:227]
	;; [unrolled: 1-line block ×3, first 2 shown]
	v_mul_f64_e32 v[42:43], s[24:25], v[38:39]
	v_fma_f64 v[6:7], v[6:7], s[16:17], v[18:19]
	v_add_f64_e64 v[18:19], v[157:158], -v[214:215]
	v_add_f64_e32 v[181:182], v[183:184], v[46:47]
	v_add_f64_e64 v[189:190], v[183:184], -v[46:47]
	v_fma_f64 v[46:47], v[32:33], s[18:19], v[226:227]
	v_fma_f64 v[161:162], v[30:31], s[12:13], v[161:162]
	;; [unrolled: 1-line block ×3, first 2 shown]
	v_add_f64_e32 v[199:200], v[6:7], v[14:15]
	v_add_f64_e64 v[203:204], v[6:7], -v[14:15]
	v_add_f64_e64 v[6:7], v[153:154], -v[163:164]
	v_add_f64_e64 v[14:15], v[220:221], -v[185:186]
	v_mul_f64_e32 v[40:41], s[24:25], v[40:41]
	v_add_f64_e64 v[32:33], v[165:166], -v[177:178]
	v_fma_f64 v[46:47], v[30:31], s[14:15], v[46:47]
	v_fma_f64 v[161:162], v[26:27], s[16:17], v[161:162]
	s_delay_alu instid0(VALU_DEP_4) | instskip(NEXT) | instid1(VALU_DEP_3)
	v_fma_f64 v[38:39], v[38:39], s[20:21], v[40:41]
	v_fma_f64 v[26:27], v[26:27], s[16:17], v[46:47]
	;; [unrolled: 1-line block ×3, first 2 shown]
	s_delay_alu instid0(VALU_DEP_4) | instskip(SKIP_1) | instid1(VALU_DEP_4)
	v_add_f64_e32 v[179:180], v[161:162], v[167:168]
	v_add_f64_e64 v[187:188], v[161:162], -v[167:168]
	v_add_f64_e32 v[191:192], v[26:27], v[42:43]
	v_add_f64_e64 v[195:196], v[26:27], -v[42:43]
	v_fma_f64 v[26:27], v[34:35], s[18:19], v[224:225]
	v_fma_f64 v[46:47], v[34:35], s[12:13], v[46:47]
	v_add_f64_e64 v[42:43], v[171:172], -v[159:160]
	s_delay_alu instid0(VALU_DEP_3) | instskip(NEXT) | instid1(VALU_DEP_3)
	v_fma_f64 v[22:23], v[36:37], s[12:13], v[26:27]
	v_fma_f64 v[28:29], v[28:29], s[16:17], v[46:47]
	v_add_f64_e64 v[26:27], v[171:172], -v[185:186]
	v_add_f64_e64 v[36:37], v[153:154], -v[216:217]
	;; [unrolled: 1-line block ×3, first 2 shown]
	v_fma_f64 v[8:9], v[8:9], s[16:17], v[22:23]
	v_fma_f64 v[22:23], v[18:19], s[20:21], v[16:17]
	v_add_f64_e32 v[193:194], v[28:29], v[38:39]
	v_add_f64_e64 v[197:198], v[28:29], -v[38:39]
	v_add_f64_e64 v[38:39], v[163:164], -v[175:176]
	v_fma_f64 v[40:41], v[36:37], s[20:21], v[232:233]
	v_fma_f64 v[16:17], v[18:19], s[18:19], v[16:17]
	v_add_f64_e32 v[201:202], v[8:9], v[10:11]
	v_add_f64_e64 v[205:206], v[8:9], -v[10:11]
	v_add_f64_e64 v[8:9], v[216:217], -v[175:176]
	;; [unrolled: 1-line block ×3, first 2 shown]
	v_fma_f64 v[22:23], v[20:21], s[14:15], v[22:23]
	v_fma_f64 v[40:41], v[38:39], s[14:15], v[40:41]
	;; [unrolled: 1-line block ×3, first 2 shown]
	ds_store_b128 v243, v[1:4] offset:1024
	ds_store_b128 v243, v[179:182] offset:2048
	;; [unrolled: 1-line block ×8, first 2 shown]
	v_add_f64_e32 v[6:7], v[6:7], v[8:9]
	v_add_f64_e64 v[8:9], v[155:156], -v[165:166]
	s_delay_alu instid0(VALU_DEP_1) | instskip(SKIP_1) | instid1(VALU_DEP_2)
	v_add_f64_e32 v[8:9], v[8:9], v[10:11]
	v_add_f64_e64 v[10:11], v[157:158], -v[169:170]
	v_fma_f64 v[40:41], v[8:9], s[16:17], v[40:41]
	s_delay_alu instid0(VALU_DEP_2) | instskip(SKIP_1) | instid1(VALU_DEP_1)
	v_add_f64_e32 v[10:11], v[10:11], v[12:13]
	v_add_f64_e64 v[12:13], v[159:160], -v[171:172]
	v_add_f64_e32 v[12:13], v[12:13], v[14:15]
	v_add_f64_e32 v[14:15], v[169:170], v[173:174]
	s_delay_alu instid0(VALU_DEP_2) | instskip(NEXT) | instid1(VALU_DEP_2)
	v_fma_f64 v[22:23], v[12:13], s[16:17], v[22:23]
	v_fma_f64 v[14:15], v[14:15], -0.5, v[149:150]
	v_fma_f64 v[12:13], v[12:13], s[16:17], v[16:17]
	s_delay_alu instid0(VALU_DEP_3) | instskip(NEXT) | instid1(VALU_DEP_3)
	v_mul_f64_e32 v[30:31], s[12:13], v[22:23]
	v_fma_f64 v[28:29], v[24:25], s[18:19], v[14:15]
	v_fma_f64 v[14:15], v[24:25], s[20:21], v[14:15]
	s_delay_alu instid0(VALU_DEP_2) | instskip(NEXT) | instid1(VALU_DEP_2)
	v_fma_f64 v[28:29], v[26:27], s[12:13], v[28:29]
	v_fma_f64 v[14:15], v[26:27], s[14:15], v[14:15]
	s_delay_alu instid0(VALU_DEP_2) | instskip(NEXT) | instid1(VALU_DEP_2)
	v_fma_f64 v[28:29], v[10:11], s[16:17], v[28:29]
	v_fma_f64 v[10:11], v[10:11], s[16:17], v[14:15]
	s_delay_alu instid0(VALU_DEP_2) | instskip(SKIP_1) | instid1(VALU_DEP_3)
	v_fma_f64 v[30:31], v[28:29], s[22:23], v[30:31]
	v_mul_f64_e32 v[28:29], s[14:15], v[28:29]
	v_mul_f64_e32 v[14:15], s[26:27], v[10:11]
	s_delay_alu instid0(VALU_DEP_2) | instskip(SKIP_1) | instid1(VALU_DEP_3)
	v_fma_f64 v[22:23], v[22:23], s[22:23], v[28:29]
	v_add_f64_e64 v[28:29], v[155:156], -v[218:219]
	v_fma_f64 v[14:15], v[12:13], s[12:13], v[14:15]
	v_mul_f64_e32 v[12:13], s[26:27], v[12:13]
	s_delay_alu instid0(VALU_DEP_4) | instskip(NEXT) | instid1(VALU_DEP_4)
	v_add_f64_e32 v[224:225], v[40:41], v[22:23]
	v_fma_f64 v[34:35], v[28:29], s[18:19], v[230:231]
	v_add_f64_e64 v[228:229], v[40:41], -v[22:23]
	v_add_f64_e64 v[22:23], v[163:164], -v[153:154]
	;; [unrolled: 1-line block ×4, first 2 shown]
	v_add_f64_e32 v[157:158], v[157:158], v[214:215]
	v_fma_f64 v[10:11], v[10:11], s[14:15], v[12:13]
	v_fma_f64 v[34:35], v[32:33], s[12:13], v[34:35]
	s_delay_alu instid0(VALU_DEP_1) | instskip(NEXT) | instid1(VALU_DEP_1)
	v_fma_f64 v[34:35], v[6:7], s[16:17], v[34:35]
	v_add_f64_e32 v[222:223], v[34:35], v[30:31]
	v_add_f64_e64 v[226:227], v[34:35], -v[30:31]
	v_add_f64_e64 v[30:31], v[175:176], -v[216:217]
	v_add_f64_e64 v[34:35], v[165:166], -v[155:156]
	v_add_f64_e64 v[155:156], v[173:174], -v[214:215]
	s_delay_alu instid0(VALU_DEP_3) | instskip(NEXT) | instid1(VALU_DEP_3)
	v_add_f64_e32 v[22:23], v[22:23], v[30:31]
	v_add_f64_e32 v[30:31], v[34:35], v[40:41]
	;; [unrolled: 1-line block ×3, first 2 shown]
	v_fma_f64 v[42:43], v[157:158], -0.5, v[149:150]
	v_fma_f64 v[46:47], v[20:21], s[18:19], v[44:45]
	v_add_f64_e32 v[34:35], v[153:154], v[155:156]
	s_delay_alu instid0(VALU_DEP_3) | instskip(NEXT) | instid1(VALU_DEP_3)
	v_fma_f64 v[149:150], v[26:27], s[20:21], v[42:43]
	v_fma_f64 v[46:47], v[18:19], s[14:15], v[46:47]
	v_fma_f64 v[42:43], v[26:27], s[18:19], v[42:43]
	s_delay_alu instid0(VALU_DEP_3) | instskip(NEXT) | instid1(VALU_DEP_3)
	v_fma_f64 v[149:150], v[24:25], s[12:13], v[149:150]
	v_fma_f64 v[46:47], v[40:41], s[16:17], v[46:47]
	s_delay_alu instid0(VALU_DEP_3) | instskip(NEXT) | instid1(VALU_DEP_3)
	v_fma_f64 v[42:43], v[24:25], s[14:15], v[42:43]
	v_fma_f64 v[149:150], v[34:35], s[16:17], v[149:150]
	s_delay_alu instid0(VALU_DEP_3) | instskip(NEXT) | instid1(VALU_DEP_3)
	v_mul_f64_e32 v[151:152], s[18:19], v[46:47]
	v_fma_f64 v[34:35], v[34:35], s[16:17], v[42:43]
	v_fma_f64 v[42:43], v[20:21], s[20:21], v[44:45]
	s_delay_alu instid0(VALU_DEP_3) | instskip(SKIP_2) | instid1(VALU_DEP_4)
	v_fma_f64 v[153:154], v[149:150], s[16:17], v[151:152]
	v_mul_f64_e32 v[149:150], s[20:21], v[149:150]
	v_fma_f64 v[151:152], v[38:39], s[18:19], v[234:235]
	v_fma_f64 v[42:43], v[18:19], s[12:13], v[42:43]
	v_fma_f64 v[18:19], v[36:37], s[18:19], v[232:233]
	s_delay_alu instid0(VALU_DEP_4)
	v_fma_f64 v[46:47], v[46:47], s[16:17], v[149:150]
	v_fma_f64 v[149:150], v[32:33], s[20:21], v[236:237]
	;; [unrolled: 1-line block ×8, first 2 shown]
	s_delay_alu instid0(VALU_DEP_4) | instskip(NEXT) | instid1(VALU_DEP_4)
	v_fma_f64 v[42:43], v[36:37], s[12:13], v[42:43]
	v_fma_f64 v[8:9], v[8:9], s[16:17], v[18:19]
	s_delay_alu instid0(VALU_DEP_4) | instskip(NEXT) | instid1(VALU_DEP_4)
	v_fma_f64 v[155:156], v[22:23], s[16:17], v[149:150]
	v_add_f64_e32 v[151:152], v[157:158], v[46:47]
	s_delay_alu instid0(VALU_DEP_4)
	v_fma_f64 v[30:31], v[30:31], s[16:17], v[42:43]
	v_mul_f64_e32 v[42:43], s[24:25], v[34:35]
	v_add_f64_e32 v[167:168], v[8:9], v[10:11]
	v_add_f64_e64 v[171:172], v[8:9], -v[10:11]
	v_add_f64_e32 v[149:150], v[155:156], v[153:154]
	v_add_f64_e64 v[153:154], v[155:156], -v[153:154]
	v_add_f64_e64 v[155:156], v[157:158], -v[46:47]
	v_fma_f64 v[46:47], v[32:33], s[18:19], v[236:237]
	v_fma_f64 v[42:43], v[40:41], s[18:19], v[42:43]
	v_mul_f64_e32 v[40:41], s[24:25], v[40:41]
	v_lshlrev_b32_e32 v237, 4, v0
	s_delay_alu instid0(VALU_DEP_4) | instskip(NEXT) | instid1(VALU_DEP_3)
	v_fma_f64 v[46:47], v[28:29], s[14:15], v[46:47]
	v_fma_f64 v[34:35], v[34:35], s[20:21], v[40:41]
	s_delay_alu instid0(VALU_DEP_2) | instskip(NEXT) | instid1(VALU_DEP_2)
	v_fma_f64 v[22:23], v[22:23], s[16:17], v[46:47]
	v_add_f64_e32 v[159:160], v[30:31], v[34:35]
	v_add_f64_e64 v[163:164], v[30:31], -v[34:35]
	s_delay_alu instid0(VALU_DEP_3) | instskip(SKIP_2) | instid1(VALU_DEP_1)
	v_add_f64_e32 v[157:158], v[22:23], v[42:43]
	v_add_f64_e64 v[161:162], v[22:23], -v[42:43]
	v_fma_f64 v[22:23], v[28:29], s[20:21], v[230:231]
	v_fma_f64 v[22:23], v[32:33], s[14:15], v[22:23]
	s_delay_alu instid0(VALU_DEP_1) | instskip(NEXT) | instid1(VALU_DEP_1)
	v_fma_f64 v[6:7], v[6:7], s[16:17], v[22:23]
	v_add_f64_e32 v[165:166], v[6:7], v[14:15]
	v_add_f64_e64 v[169:170], v[6:7], -v[14:15]
	v_mad_co_u64_u32 v[5:6], null, v240, 48, s[10:11]
	ds_store_b128 v237, v[145:148]
	ds_store_b128 v237, v[222:225] offset:1024
	ds_store_b128 v237, v[149:152] offset:2048
	;; [unrolled: 1-line block ×9, first 2 shown]
	global_wb scope:SCOPE_SE
	s_wait_dscnt 0x0
	s_barrier_signal -1
	s_barrier_wait -1
	global_inv scope:SCOPE_SE
	s_clause 0x3
	global_load_b128 v[141:144], v[5:6], off offset:10176
	global_load_b128 v[157:160], v[5:6], off offset:10192
	;; [unrolled: 1-line block ×4, first 2 shown]
	ds_load_b128 v[1:4], v238 offset:10240
	s_clause 0x9
	global_load_b128 v[153:156], v[5:6], off offset:16336
	global_load_b128 v[161:164], v[5:6], off offset:16352
	;; [unrolled: 1-line block ×10, first 2 shown]
	s_wait_loadcnt_dscnt 0xd00
	v_mul_f64_e32 v[7:8], v[3:4], v[143:144]
	s_delay_alu instid0(VALU_DEP_1) | instskip(SKIP_1) | instid1(VALU_DEP_1)
	v_fma_f64 v[201:202], v[1:2], v[141:142], -v[7:8]
	v_mul_f64_e32 v[0:1], v[1:2], v[143:144]
	v_fma_f64 v[203:204], v[3:4], v[141:142], v[0:1]
	ds_load_b128 v[1:4], v238 offset:20480
	s_wait_loadcnt_dscnt 0xc00
	v_mul_f64_e32 v[7:8], v[3:4], v[159:160]
	s_delay_alu instid0(VALU_DEP_1) | instskip(SKIP_1) | instid1(VALU_DEP_1)
	v_fma_f64 v[7:8], v[1:2], v[157:158], -v[7:8]
	v_mul_f64_e32 v[0:1], v[1:2], v[159:160]
	v_fma_f64 v[9:10], v[3:4], v[157:158], v[0:1]
	ds_load_b128 v[1:4], v238 offset:30720
	s_wait_loadcnt_dscnt 0xb00
	v_mul_f64_e32 v[11:12], v[3:4], v[147:148]
	s_delay_alu instid0(VALU_DEP_1) | instskip(SKIP_1) | instid1(VALU_DEP_2)
	v_fma_f64 v[227:228], v[1:2], v[145:146], -v[11:12]
	v_mul_f64_e32 v[0:1], v[1:2], v[147:148]
	v_add_f64_e64 v[211:212], v[201:202], -v[227:228]
	s_delay_alu instid0(VALU_DEP_2) | instskip(SKIP_4) | instid1(VALU_DEP_2)
	v_fma_f64 v[13:14], v[3:4], v[145:146], v[0:1]
	ds_load_b128 v[1:4], v238 offset:12288
	s_wait_loadcnt_dscnt 0xa00
	v_mul_f64_e32 v[15:16], v[3:4], v[151:152]
	v_add_f64_e64 v[13:14], v[203:204], -v[13:14]
	v_fma_f64 v[205:206], v[1:2], v[149:150], -v[15:16]
	v_mul_f64_e32 v[0:1], v[1:2], v[151:152]
	s_delay_alu instid0(VALU_DEP_1) | instskip(SKIP_3) | instid1(VALU_DEP_1)
	v_fma_f64 v[15:16], v[3:4], v[149:150], v[0:1]
	ds_load_b128 v[1:4], v238 offset:22528
	s_wait_loadcnt_dscnt 0x900
	v_mul_f64_e32 v[17:18], v[3:4], v[155:156]
	v_fma_f64 v[17:18], v[1:2], v[153:154], -v[17:18]
	v_mul_f64_e32 v[0:1], v[1:2], v[155:156]
	s_delay_alu instid0(VALU_DEP_1) | instskip(SKIP_3) | instid1(VALU_DEP_1)
	v_fma_f64 v[19:20], v[3:4], v[153:154], v[0:1]
	ds_load_b128 v[1:4], v238 offset:32768
	s_wait_loadcnt_dscnt 0x800
	v_mul_f64_e32 v[21:22], v[3:4], v[163:164]
	v_fma_f64 v[21:22], v[1:2], v[161:162], -v[21:22]
	v_mul_f64_e32 v[0:1], v[1:2], v[163:164]
	s_delay_alu instid0(VALU_DEP_2) | instskip(NEXT) | instid1(VALU_DEP_2)
	v_add_f64_e64 v[21:22], v[205:206], -v[21:22]
	v_fma_f64 v[23:24], v[3:4], v[161:162], v[0:1]
	ds_load_b128 v[1:4], v238 offset:14336
	s_wait_loadcnt_dscnt 0x700
	v_mul_f64_e32 v[25:26], v[3:4], v[167:168]
	v_add_f64_e64 v[23:24], v[15:16], -v[23:24]
	s_delay_alu instid0(VALU_DEP_2) | instskip(SKIP_1) | instid1(VALU_DEP_1)
	v_fma_f64 v[25:26], v[1:2], v[165:166], -v[25:26]
	v_mul_f64_e32 v[0:1], v[1:2], v[167:168]
	v_fma_f64 v[27:28], v[3:4], v[165:166], v[0:1]
	ds_load_b128 v[1:4], v238 offset:24576
	s_wait_loadcnt_dscnt 0x600
	v_mul_f64_e32 v[29:30], v[3:4], v[171:172]
	s_delay_alu instid0(VALU_DEP_1) | instskip(SKIP_1) | instid1(VALU_DEP_1)
	v_fma_f64 v[29:30], v[1:2], v[169:170], -v[29:30]
	v_mul_f64_e32 v[0:1], v[1:2], v[171:172]
	v_fma_f64 v[31:32], v[3:4], v[169:170], v[0:1]
	ds_load_b128 v[1:4], v238 offset:34816
	s_wait_loadcnt_dscnt 0x500
	v_mul_f64_e32 v[33:34], v[3:4], v[175:176]
	s_delay_alu instid0(VALU_DEP_1) | instskip(SKIP_1) | instid1(VALU_DEP_2)
	v_fma_f64 v[33:34], v[1:2], v[173:174], -v[33:34]
	v_mul_f64_e32 v[0:1], v[1:2], v[175:176]
	v_add_f64_e64 v[33:34], v[25:26], -v[33:34]
	s_delay_alu instid0(VALU_DEP_2) | instskip(SKIP_4) | instid1(VALU_DEP_2)
	v_fma_f64 v[35:36], v[3:4], v[173:174], v[0:1]
	ds_load_b128 v[1:4], v238 offset:16384
	s_wait_loadcnt_dscnt 0x400
	v_mul_f64_e32 v[37:38], v[3:4], v[179:180]
	v_add_f64_e64 v[35:36], v[27:28], -v[35:36]
	v_fma_f64 v[37:38], v[1:2], v[177:178], -v[37:38]
	v_mul_f64_e32 v[0:1], v[1:2], v[179:180]
	s_delay_alu instid0(VALU_DEP_1) | instskip(SKIP_3) | instid1(VALU_DEP_1)
	v_fma_f64 v[39:40], v[3:4], v[177:178], v[0:1]
	ds_load_b128 v[1:4], v238 offset:26624
	s_wait_loadcnt_dscnt 0x300
	v_mul_f64_e32 v[41:42], v[3:4], v[183:184]
	v_fma_f64 v[41:42], v[1:2], v[181:182], -v[41:42]
	v_mul_f64_e32 v[0:1], v[1:2], v[183:184]
	s_delay_alu instid0(VALU_DEP_1) | instskip(SKIP_3) | instid1(VALU_DEP_1)
	v_fma_f64 v[43:44], v[3:4], v[181:182], v[0:1]
	ds_load_b128 v[1:4], v238 offset:36864
	s_wait_loadcnt_dscnt 0x200
	v_mul_f64_e32 v[45:46], v[3:4], v[187:188]
	v_fma_f64 v[45:46], v[1:2], v[185:186], -v[45:46]
	v_mul_f64_e32 v[0:1], v[1:2], v[187:188]
	s_delay_alu instid0(VALU_DEP_2) | instskip(NEXT) | instid1(VALU_DEP_2)
	v_add_f64_e64 v[45:46], v[37:38], -v[45:46]
	v_fma_f64 v[47:48], v[3:4], v[185:186], v[0:1]
	ds_load_b128 v[1:4], v238 offset:18432
	s_wait_loadcnt_dscnt 0x100
	v_mul_f64_e32 v[193:194], v[3:4], v[191:192]
	v_add_f64_e64 v[47:48], v[39:40], -v[47:48]
	s_delay_alu instid0(VALU_DEP_2) | instskip(SKIP_1) | instid1(VALU_DEP_1)
	v_fma_f64 v[233:234], v[1:2], v[189:190], -v[193:194]
	v_mul_f64_e32 v[0:1], v[1:2], v[191:192]
	v_fma_f64 v[235:236], v[3:4], v[189:190], v[0:1]
	ds_load_b128 v[1:4], v238 offset:28672
	s_wait_loadcnt_dscnt 0x0
	v_mul_f64_e32 v[193:194], v[3:4], v[199:200]
	s_delay_alu instid0(VALU_DEP_1) | instskip(SKIP_2) | instid1(VALU_DEP_1)
	v_fma_f64 v[221:222], v[1:2], v[197:198], -v[193:194]
	global_load_b128 v[193:196], v[5:6], off offset:34784
	v_mul_f64_e32 v[0:1], v[1:2], v[199:200]
	v_fma_f64 v[223:224], v[3:4], v[197:198], v[0:1]
	ds_load_b128 v[1:4], v238 offset:38912
	s_wait_loadcnt_dscnt 0x0
	v_mul_f64_e32 v[5:6], v[3:4], v[195:196]
	s_delay_alu instid0(VALU_DEP_1) | instskip(SKIP_1) | instid1(VALU_DEP_2)
	v_fma_f64 v[5:6], v[1:2], v[193:194], -v[5:6]
	v_mul_f64_e32 v[0:1], v[1:2], v[195:196]
	v_add_f64_e64 v[5:6], v[233:234], -v[5:6]
	s_delay_alu instid0(VALU_DEP_2)
	v_fma_f64 v[225:226], v[3:4], v[193:194], v[0:1]
	ds_load_b128 v[1:4], v238 offset:2048
	s_wait_dscnt 0x0
	v_add_f64_e64 v[17:18], v[1:2], -v[17:18]
	v_add_f64_e64 v[19:20], v[3:4], -v[19:20]
	;; [unrolled: 1-line block ×3, first 2 shown]
	s_delay_alu instid0(VALU_DEP_3) | instskip(NEXT) | instid1(VALU_DEP_3)
	v_fma_f64 v[229:230], v[1:2], 2.0, -v[17:18]
	v_fma_f64 v[231:232], v[3:4], 2.0, -v[19:20]
	v_add_f64_e64 v[1:2], v[17:18], -v[23:24]
	v_add_f64_e32 v[3:4], v[19:20], v[21:22]
	s_delay_alu instid0(VALU_DEP_2) | instskip(NEXT) | instid1(VALU_DEP_2)
	v_fma_f64 v[207:208], v[17:18], 2.0, -v[1:2]
	v_fma_f64 v[209:210], v[19:20], 2.0, -v[3:4]
	ds_store_b128 v238, v[1:4] offset:32768
	ds_load_b128 v[1:4], v238 offset:4096
	s_wait_dscnt 0x0
	v_add_f64_e64 v[17:18], v[1:2], -v[29:30]
	v_add_f64_e64 v[19:20], v[3:4], -v[31:32]
	s_delay_alu instid0(VALU_DEP_2) | instskip(NEXT) | instid1(VALU_DEP_2)
	v_fma_f64 v[29:30], v[1:2], 2.0, -v[17:18]
	v_fma_f64 v[31:32], v[3:4], 2.0, -v[19:20]
	v_add_f64_e64 v[1:2], v[17:18], -v[35:36]
	v_add_f64_e32 v[3:4], v[19:20], v[33:34]
	s_delay_alu instid0(VALU_DEP_2) | instskip(NEXT) | instid1(VALU_DEP_2)
	v_fma_f64 v[213:214], v[17:18], 2.0, -v[1:2]
	v_fma_f64 v[215:216], v[19:20], 2.0, -v[3:4]
	ds_store_b128 v238, v[1:4] offset:34816
	ds_load_b128 v[1:4], v238 offset:6144
	s_wait_dscnt 0x0
	v_add_f64_e64 v[17:18], v[1:2], -v[41:42]
	v_add_f64_e64 v[19:20], v[3:4], -v[43:44]
	s_delay_alu instid0(VALU_DEP_2) | instskip(NEXT) | instid1(VALU_DEP_2)
	;; [unrolled: 13-line block ×3, first 2 shown]
	v_fma_f64 v[244:245], v[1:2], 2.0, -v[17:18]
	v_fma_f64 v[246:247], v[3:4], 2.0, -v[19:20]
	v_add_f64_e64 v[1:2], v[17:18], -v[11:12]
	v_add_f64_e32 v[3:4], v[19:20], v[5:6]
	s_delay_alu instid0(VALU_DEP_2) | instskip(NEXT) | instid1(VALU_DEP_2)
	v_fma_f64 v[221:222], v[17:18], 2.0, -v[1:2]
	v_fma_f64 v[223:224], v[19:20], 2.0, -v[3:4]
	ds_store_b128 v238, v[1:4] offset:38912
	ds_load_b128 v[1:4], v238
	s_wait_dscnt 0x0
	v_add_f64_e64 v[7:8], v[1:2], -v[7:8]
	v_add_f64_e64 v[9:10], v[3:4], -v[9:10]
	s_delay_alu instid0(VALU_DEP_2) | instskip(NEXT) | instid1(VALU_DEP_2)
	v_fma_f64 v[17:18], v[1:2], 2.0, -v[7:8]
	v_fma_f64 v[19:20], v[3:4], 2.0, -v[9:10]
	v_add_f64_e64 v[1:2], v[7:8], -v[13:14]
	v_add_f64_e32 v[3:4], v[9:10], v[211:212]
	s_delay_alu instid0(VALU_DEP_2) | instskip(NEXT) | instid1(VALU_DEP_2)
	v_fma_f64 v[225:226], v[7:8], 2.0, -v[1:2]
	v_fma_f64 v[227:228], v[9:10], 2.0, -v[3:4]
	ds_store_b128 v238, v[1:4] offset:30720
	v_fma_f64 v[0:1], v[201:202], 2.0, -v[211:212]
	v_fma_f64 v[3:4], v[203:204], 2.0, -v[13:14]
	s_delay_alu instid0(VALU_DEP_2) | instskip(NEXT) | instid1(VALU_DEP_2)
	v_add_f64_e64 v[1:2], v[17:18], -v[0:1]
	v_add_f64_e64 v[3:4], v[19:20], -v[3:4]
	s_delay_alu instid0(VALU_DEP_2) | instskip(NEXT) | instid1(VALU_DEP_2)
	v_fma_f64 v[201:202], v[17:18], 2.0, -v[1:2]
	v_fma_f64 v[203:204], v[19:20], 2.0, -v[3:4]
	ds_store_b128 v238, v[1:4] offset:20480
	v_fma_f64 v[0:1], v[205:206], 2.0, -v[21:22]
	v_fma_f64 v[3:4], v[15:16], 2.0, -v[23:24]
	s_delay_alu instid0(VALU_DEP_2) | instskip(NEXT) | instid1(VALU_DEP_2)
	v_add_f64_e64 v[1:2], v[229:230], -v[0:1]
	v_add_f64_e64 v[3:4], v[231:232], -v[3:4]
	ds_store_b128 v238, v[1:4] offset:22528
	ds_store_b128 v238, v[207:210] offset:12288
	;; [unrolled: 1-line block ×3, first 2 shown]
	v_fma_f64 v[229:230], v[229:230], 2.0, -v[1:2]
	v_fma_f64 v[231:232], v[231:232], 2.0, -v[3:4]
	;; [unrolled: 1-line block ×4, first 2 shown]
	s_delay_alu instid0(VALU_DEP_2) | instskip(NEXT) | instid1(VALU_DEP_2)
	v_add_f64_e64 v[1:2], v[29:30], -v[0:1]
	v_add_f64_e64 v[3:4], v[31:32], -v[3:4]
	s_delay_alu instid0(VALU_DEP_2) | instskip(NEXT) | instid1(VALU_DEP_2)
	v_fma_f64 v[205:206], v[29:30], 2.0, -v[1:2]
	v_fma_f64 v[207:208], v[31:32], 2.0, -v[3:4]
	ds_store_b128 v238, v[1:4] offset:24576
	v_fma_f64 v[0:1], v[37:38], 2.0, -v[45:46]
	v_fma_f64 v[3:4], v[39:40], 2.0, -v[47:48]
	s_delay_alu instid0(VALU_DEP_2) | instskip(NEXT) | instid1(VALU_DEP_2)
	v_add_f64_e64 v[1:2], v[41:42], -v[0:1]
	v_add_f64_e64 v[3:4], v[43:44], -v[3:4]
	ds_store_b128 v238, v[1:4] offset:26624
	ds_store_b128 v238, v[217:220] offset:16384
	;; [unrolled: 1-line block ×3, first 2 shown]
	v_fma_f64 v[213:214], v[41:42], 2.0, -v[1:2]
	v_fma_f64 v[215:216], v[43:44], 2.0, -v[3:4]
	;; [unrolled: 1-line block ×4, first 2 shown]
	s_delay_alu instid0(VALU_DEP_2) | instskip(NEXT) | instid1(VALU_DEP_2)
	v_add_f64_e64 v[1:2], v[244:245], -v[0:1]
	v_add_f64_e64 v[3:4], v[246:247], -v[3:4]
	s_delay_alu instid0(VALU_DEP_2) | instskip(NEXT) | instid1(VALU_DEP_2)
	v_fma_f64 v[217:218], v[244:245], 2.0, -v[1:2]
	v_fma_f64 v[219:220], v[246:247], 2.0, -v[3:4]
	ds_store_b128 v238, v[1:4] offset:28672
	ds_store_b128 v238, v[225:228] offset:10240
	ds_store_b128 v238, v[201:204]
	ds_store_b128 v238, v[229:232] offset:2048
	ds_store_b128 v238, v[205:208] offset:4096
	;; [unrolled: 1-line block ×4, first 2 shown]
	global_wb scope:SCOPE_SE
	s_wait_dscnt 0x0
	s_barrier_signal -1
	s_barrier_wait -1
	global_inv scope:SCOPE_SE
	global_load_b128 v[201:204], v238, s[8:9] offset:40960
	ds_load_b128 v[205:208], v238
	ds_load_b128 v[233:236], v238 offset:32768
	s_add_nc_u64 s[8:9], s[8:9], 0xa000
	ds_load_b128 v[225:228], v238 offset:12288
	ds_load_b128 v[213:216], v238 offset:20480
	ds_load_b128 v[5:8], v238 offset:14336
	ds_load_b128 v[217:220], v238 offset:30720
	ds_load_b128 v[229:232], v238 offset:22528
	ds_load_b128 v[221:224], v238 offset:2048
	ds_load_b128 v[244:247], v238 offset:4096
	ds_load_b128 v[21:24], v238 offset:16384
	s_wait_loadcnt_dscnt 0x9
	v_mul_f64_e32 v[0:1], v[207:208], v[203:204]
	v_mul_f64_e32 v[2:3], v[205:206], v[203:204]
	s_delay_alu instid0(VALU_DEP_2) | instskip(NEXT) | instid1(VALU_DEP_2)
	v_fma_f64 v[45:46], v[205:206], v[201:202], -v[0:1]
	v_fma_f64 v[47:48], v[207:208], v[201:202], v[2:3]
	global_load_b128 v[201:204], v238, s[8:9] offset:10240
	ds_load_b128 v[205:208], v238 offset:10240
	s_wait_loadcnt_dscnt 0x0
	v_mul_f64_e32 v[0:1], v[207:208], v[203:204]
	v_mul_f64_e32 v[2:3], v[205:206], v[203:204]
	s_delay_alu instid0(VALU_DEP_2) | instskip(NEXT) | instid1(VALU_DEP_2)
	v_fma_f64 v[203:204], v[205:206], v[201:202], -v[0:1]
	v_fma_f64 v[205:206], v[207:208], v[201:202], v[2:3]
	global_load_b128 v[207:210], v238, s[8:9] offset:20480
	s_wait_loadcnt 0x0
	v_mul_f64_e32 v[0:1], v[215:216], v[209:210]
	v_mul_f64_e32 v[2:3], v[213:214], v[209:210]
	s_delay_alu instid0(VALU_DEP_2) | instskip(NEXT) | instid1(VALU_DEP_2)
	v_fma_f64 v[213:214], v[213:214], v[207:208], -v[0:1]
	v_fma_f64 v[215:216], v[215:216], v[207:208], v[2:3]
	global_load_b128 v[207:210], v238, s[8:9] offset:30720
	s_wait_loadcnt 0x0
	;; [unrolled: 7-line block ×8, first 2 shown]
	v_mul_f64_e32 v[0:1], v[7:8], v[209:210]
	v_mul_f64_e32 v[2:3], v[5:6], v[209:210]
	s_delay_alu instid0(VALU_DEP_2) | instskip(NEXT) | instid1(VALU_DEP_2)
	v_fma_f64 v[41:42], v[5:6], v[207:208], -v[0:1]
	v_fma_f64 v[43:44], v[7:8], v[207:208], v[2:3]
	global_load_b128 v[207:210], v238, s[8:9] offset:24576
	ds_load_b128 v[0:3], v238 offset:24576
	s_wait_loadcnt_dscnt 0x0
	v_mul_f64_e32 v[4:5], v[2:3], v[209:210]
	v_mul_f64_e32 v[6:7], v[0:1], v[209:210]
	s_delay_alu instid0(VALU_DEP_2) | instskip(NEXT) | instid1(VALU_DEP_2)
	v_fma_f64 v[37:38], v[0:1], v[207:208], -v[4:5]
	v_fma_f64 v[39:40], v[2:3], v[207:208], v[6:7]
	global_load_b128 v[207:210], v238, s[8:9] offset:34816
	ds_load_b128 v[0:3], v238 offset:34816
	s_wait_loadcnt_dscnt 0x0
	;; [unrolled: 8-line block ×3, first 2 shown]
	v_mul_f64_e32 v[4:5], v[2:3], v[209:210]
	v_mul_f64_e32 v[6:7], v[0:1], v[209:210]
	s_delay_alu instid0(VALU_DEP_2) | instskip(NEXT) | instid1(VALU_DEP_2)
	v_fma_f64 v[29:30], v[0:1], v[207:208], -v[4:5]
	v_fma_f64 v[31:32], v[2:3], v[207:208], v[6:7]
	global_load_b128 v[207:210], v238, s[8:9] offset:16384
	s_wait_loadcnt 0x0
	v_mul_f64_e32 v[0:1], v[23:24], v[209:210]
	v_mul_f64_e32 v[2:3], v[21:22], v[209:210]
	s_delay_alu instid0(VALU_DEP_2) | instskip(NEXT) | instid1(VALU_DEP_2)
	v_fma_f64 v[25:26], v[21:22], v[207:208], -v[0:1]
	v_fma_f64 v[27:28], v[23:24], v[207:208], v[2:3]
	global_load_b128 v[207:210], v238, s[8:9] offset:26624
	ds_load_b128 v[0:3], v238 offset:26624
	s_wait_loadcnt_dscnt 0x0
	v_mul_f64_e32 v[4:5], v[2:3], v[209:210]
	v_mul_f64_e32 v[6:7], v[0:1], v[209:210]
	s_delay_alu instid0(VALU_DEP_2) | instskip(NEXT) | instid1(VALU_DEP_2)
	v_fma_f64 v[20:21], v[0:1], v[207:208], -v[4:5]
	v_fma_f64 v[22:23], v[2:3], v[207:208], v[6:7]
	global_load_b128 v[207:210], v238, s[8:9] offset:36864
	ds_load_b128 v[0:3], v238 offset:36864
	s_wait_loadcnt_dscnt 0x0
	;; [unrolled: 8-line block ×6, first 2 shown]
	v_mul_f64_e32 v[201:202], v[2:3], v[209:210]
	v_mul_f64_e32 v[209:210], v[0:1], v[209:210]
	s_delay_alu instid0(VALU_DEP_2) | instskip(NEXT) | instid1(VALU_DEP_2)
	v_fma_f64 v[0:1], v[0:1], v[207:208], -v[201:202]
	v_fma_f64 v[2:3], v[2:3], v[207:208], v[209:210]
	ds_store_b128 v238, v[45:48]
	ds_store_b128 v238, v[221:224] offset:2048
	ds_store_b128 v238, v[213:216] offset:20480
	;; [unrolled: 1-line block ×19, first 2 shown]
	global_wb scope:SCOPE_SE
	s_wait_dscnt 0x0
	s_barrier_signal -1
	s_barrier_wait -1
	global_inv scope:SCOPE_SE
	ds_load_b128 v[0:3], v238 offset:36864
	ds_load_b128 v[4:7], v238 offset:16384
	s_wait_dscnt 0x0
	v_add_f64_e64 v[12:13], v[6:7], -v[2:3]
	v_add_f64_e64 v[14:15], v[4:5], -v[0:1]
	ds_load_b128 v[0:3], v238 offset:6144
	ds_load_b128 v[8:11], v238 offset:26624
	s_wait_dscnt 0x0
	v_add_f64_e64 v[8:9], v[0:1], -v[8:9]
	v_add_f64_e64 v[10:11], v[2:3], -v[10:11]
	v_fma_f64 v[211:212], v[6:7], 2.0, -v[12:13]
	v_fma_f64 v[209:210], v[4:5], 2.0, -v[14:15]
	s_delay_alu instid0(VALU_DEP_4) | instskip(NEXT) | instid1(VALU_DEP_4)
	v_add_f64_e32 v[4:5], v[8:9], v[12:13]
	v_add_f64_e64 v[6:7], v[10:11], -v[14:15]
	v_fma_f64 v[229:230], v[0:1], 2.0, -v[8:9]
	v_fma_f64 v[231:232], v[2:3], 2.0, -v[10:11]
	s_delay_alu instid0(VALU_DEP_4) | instskip(NEXT) | instid1(VALU_DEP_4)
	v_fma_f64 v[0:1], v[8:9], 2.0, -v[4:5]
	v_fma_f64 v[2:3], v[10:11], 2.0, -v[6:7]
	ds_load_b128 v[8:11], v238 offset:18432
	ds_load_b128 v[12:15], v238 offset:38912
	;; [unrolled: 1-line block ×8, first 2 shown]
	ds_load_b128 v[40:43], v238
	ds_load_b128 v[44:47], v238 offset:2048
	ds_load_b128 v[201:204], v238 offset:20480
	;; [unrolled: 1-line block ×7, first 2 shown]
	global_wb scope:SCOPE_SE
	s_wait_dscnt 0x0
	s_barrier_signal -1
	s_barrier_wait -1
	global_inv scope:SCOPE_SE
	scratch_load_b32 v48, off, off offset:216 th:TH_LOAD_LU ; 4-byte Folded Reload
	s_wait_loadcnt 0x0
	ds_store_b128 v48, v[4:7] offset:48
	ds_store_b128 v48, v[0:3] offset:16
	v_add_f64_e64 v[0:1], v[229:230], -v[209:210]
	v_add_f64_e64 v[2:3], v[231:232], -v[211:212]
	s_delay_alu instid0(VALU_DEP_2) | instskip(NEXT) | instid1(VALU_DEP_2)
	v_fma_f64 v[4:5], v[229:230], 2.0, -v[0:1]
	v_fma_f64 v[6:7], v[231:232], 2.0, -v[2:3]
	ds_store_b128 v48, v[0:3] offset:32
	v_add_f64_e64 v[2:3], v[8:9], -v[12:13]
	v_add_f64_e64 v[0:1], v[10:11], -v[14:15]
	;; [unrolled: 1-line block ×4, first 2 shown]
	s_delay_alu instid0(VALU_DEP_4) | instskip(NEXT) | instid1(VALU_DEP_4)
	v_fma_f64 v[24:25], v[8:9], 2.0, -v[2:3]
	v_fma_f64 v[26:27], v[10:11], 2.0, -v[0:1]
	s_delay_alu instid0(VALU_DEP_4) | instskip(SKIP_3) | instid1(VALU_DEP_4)
	v_add_f64_e32 v[0:1], v[12:13], v[0:1]
	v_fma_f64 v[20:21], v[20:21], 2.0, -v[12:13]
	v_add_f64_e64 v[2:3], v[14:15], -v[2:3]
	v_fma_f64 v[22:23], v[22:23], 2.0, -v[14:15]
	v_fma_f64 v[8:9], v[12:13], 2.0, -v[0:1]
	scratch_load_b32 v12, off, off offset:212 th:TH_LOAD_LU ; 4-byte Folded Reload
	v_fma_f64 v[10:11], v[14:15], 2.0, -v[2:3]
	s_wait_loadcnt 0x0
	ds_store_b128 v12, v[0:3] offset:48
	ds_store_b128 v12, v[8:11] offset:16
	v_add_f64_e64 v[0:1], v[20:21], -v[24:25]
	v_add_f64_e64 v[2:3], v[22:23], -v[26:27]
	v_add_f64_e64 v[14:15], v[34:35], -v[38:39]
	s_delay_alu instid0(VALU_DEP_3)
	v_fma_f64 v[8:9], v[20:21], 2.0, -v[0:1]
	ds_store_b128 v12, v[0:3] offset:32
	v_add_f64_e64 v[12:13], v[32:33], -v[36:37]
	v_fma_f64 v[10:11], v[22:23], 2.0, -v[2:3]
	v_add_f64_e64 v[2:3], v[217:218], -v[225:226]
	v_add_f64_e64 v[0:1], v[219:220], -v[227:228]
	v_fma_f64 v[26:27], v[34:35], 2.0, -v[14:15]
	v_fma_f64 v[24:25], v[32:33], 2.0, -v[12:13]
	scratch_load_b32 v32, off, off offset:208 th:TH_LOAD_LU ; 4-byte Folded Reload
	v_fma_f64 v[20:21], v[217:218], 2.0, -v[2:3]
	v_fma_f64 v[22:23], v[219:220], 2.0, -v[0:1]
	v_add_f64_e32 v[0:1], v[12:13], v[0:1]
	v_add_f64_e64 v[2:3], v[14:15], -v[2:3]
	s_delay_alu instid0(VALU_DEP_2) | instskip(NEXT) | instid1(VALU_DEP_2)
	v_fma_f64 v[12:13], v[12:13], 2.0, -v[0:1]
	v_fma_f64 v[14:15], v[14:15], 2.0, -v[2:3]
	s_wait_loadcnt 0x0
	ds_store_b128 v32, v[0:3] offset:48
	ds_store_b128 v32, v[12:15] offset:16
	scratch_load_b32 v36, off, off offset:204 th:TH_LOAD_LU ; 4-byte Folded Reload
	v_add_f64_e64 v[0:1], v[24:25], -v[20:21]
	v_add_f64_e64 v[2:3], v[26:27], -v[22:23]
	;; [unrolled: 1-line block ×4, first 2 shown]
	s_delay_alu instid0(VALU_DEP_4) | instskip(NEXT) | instid1(VALU_DEP_4)
	v_fma_f64 v[12:13], v[24:25], 2.0, -v[0:1]
	v_fma_f64 v[14:15], v[26:27], 2.0, -v[2:3]
	ds_store_b128 v32, v[0:3] offset:32
	v_add_f64_e64 v[2:3], v[213:214], -v[221:222]
	v_add_f64_e64 v[0:1], v[215:216], -v[223:224]
	v_fma_f64 v[32:33], v[44:45], 2.0, -v[20:21]
	v_fma_f64 v[34:35], v[46:47], 2.0, -v[22:23]
	s_delay_alu instid0(VALU_DEP_4) | instskip(NEXT) | instid1(VALU_DEP_4)
	v_fma_f64 v[24:25], v[213:214], 2.0, -v[2:3]
	v_fma_f64 v[26:27], v[215:216], 2.0, -v[0:1]
	v_add_f64_e32 v[0:1], v[20:21], v[0:1]
	v_add_f64_e64 v[2:3], v[22:23], -v[2:3]
	s_delay_alu instid0(VALU_DEP_2) | instskip(NEXT) | instid1(VALU_DEP_2)
	v_fma_f64 v[20:21], v[20:21], 2.0, -v[0:1]
	v_fma_f64 v[22:23], v[22:23], 2.0, -v[2:3]
	s_wait_loadcnt 0x0
	ds_store_b128 v36, v[0:3] offset:48
	v_add_f64_e64 v[0:1], v[32:33], -v[24:25]
	v_add_f64_e64 v[2:3], v[34:35], -v[26:27]
	ds_store_b128 v36, v[0:3] offset:32
	ds_store_b128 v36, v[20:23] offset:16
	v_fma_f64 v[24:25], v[32:33], 2.0, -v[0:1]
	v_fma_f64 v[26:27], v[34:35], 2.0, -v[2:3]
	v_add_f64_e64 v[2:3], v[16:17], -v[28:29]
	v_add_f64_e64 v[0:1], v[18:19], -v[30:31]
	;; [unrolled: 1-line block ×4, first 2 shown]
	s_delay_alu instid0(VALU_DEP_4) | instskip(NEXT) | instid1(VALU_DEP_4)
	v_fma_f64 v[28:29], v[16:17], 2.0, -v[2:3]
	v_fma_f64 v[30:31], v[18:19], 2.0, -v[0:1]
	s_delay_alu instid0(VALU_DEP_4) | instskip(NEXT) | instid1(VALU_DEP_4)
	v_add_f64_e32 v[0:1], v[20:21], v[0:1]
	v_add_f64_e64 v[2:3], v[22:23], -v[2:3]
	v_fma_f64 v[32:33], v[40:41], 2.0, -v[20:21]
	v_fma_f64 v[34:35], v[42:43], 2.0, -v[22:23]
	s_delay_alu instid0(VALU_DEP_4) | instskip(NEXT) | instid1(VALU_DEP_4)
	v_fma_f64 v[16:17], v[20:21], 2.0, -v[0:1]
	v_fma_f64 v[18:19], v[22:23], 2.0, -v[2:3]
	ds_store_b128 v239, v[0:3] offset:48
	v_add_f64_e64 v[0:1], v[32:33], -v[28:29]
	v_add_f64_e64 v[2:3], v[34:35], -v[30:31]
	s_delay_alu instid0(VALU_DEP_2) | instskip(NEXT) | instid1(VALU_DEP_2)
	v_fma_f64 v[20:21], v[32:33], 2.0, -v[0:1]
	v_fma_f64 v[22:23], v[34:35], 2.0, -v[2:3]
	ds_store_b128 v239, v[0:3] offset:32
	ds_store_b128 v239, v[16:19] offset:16
	ds_store_b128 v239, v[20:23]
	ds_store_b128 v239, v[24:27] offset:8192
	scratch_load_b32 v0, off, off offset:200 th:TH_LOAD_LU ; 4-byte Folded Reload
	s_wait_loadcnt 0x0
	ds_store_b128 v0, v[12:15] offset:16384
	ds_store_b128 v0, v[4:7] offset:24576
	;; [unrolled: 1-line block ×3, first 2 shown]
	global_wb scope:SCOPE_SE
	s_wait_dscnt 0x0
	s_barrier_signal -1
	s_barrier_wait -1
	global_inv scope:SCOPE_SE
	ds_load_b128 v[0:3], v238 offset:10240
	s_wait_dscnt 0x0
	v_mul_f64_e32 v[4:5], v[87:88], v[2:3]
	s_delay_alu instid0(VALU_DEP_1) | instskip(SKIP_1) | instid1(VALU_DEP_1)
	v_fma_f64 v[24:25], v[85:86], v[0:1], v[4:5]
	v_mul_f64_e32 v[0:1], v[87:88], v[0:1]
	v_fma_f64 v[26:27], v[85:86], v[2:3], -v[0:1]
	ds_load_b128 v[0:3], v238 offset:12288
	s_wait_dscnt 0x0
	v_mul_f64_e32 v[4:5], v[87:88], v[2:3]
	s_delay_alu instid0(VALU_DEP_1) | instskip(SKIP_1) | instid1(VALU_DEP_1)
	v_fma_f64 v[28:29], v[85:86], v[0:1], v[4:5]
	v_mul_f64_e32 v[0:1], v[87:88], v[0:1]
	v_fma_f64 v[30:31], v[85:86], v[2:3], -v[0:1]
	;; [unrolled: 7-line block ×10, first 2 shown]
	ds_load_b128 v[0:3], v238 offset:30720
	s_wait_dscnt 0x0
	v_mul_f64_e32 v[8:9], v[91:92], v[2:3]
	s_delay_alu instid0(VALU_DEP_1) | instskip(SKIP_1) | instid1(VALU_DEP_2)
	v_fma_f64 v[8:9], v[89:90], v[0:1], v[8:9]
	v_mul_f64_e32 v[0:1], v[91:92], v[0:1]
	v_add_f64_e64 v[223:224], v[24:25], -v[8:9]
	s_delay_alu instid0(VALU_DEP_2) | instskip(SKIP_4) | instid1(VALU_DEP_2)
	v_fma_f64 v[10:11], v[89:90], v[2:3], -v[0:1]
	ds_load_b128 v[0:3], v238 offset:32768
	s_wait_dscnt 0x0
	v_mul_f64_e32 v[12:13], v[91:92], v[2:3]
	v_add_f64_e64 v[221:222], v[26:27], -v[10:11]
	v_fma_f64 v[95:96], v[89:90], v[0:1], v[12:13]
	v_mul_f64_e32 v[0:1], v[91:92], v[0:1]
	s_delay_alu instid0(VALU_DEP_1) | instskip(SKIP_3) | instid1(VALU_DEP_1)
	v_fma_f64 v[207:208], v[89:90], v[2:3], -v[0:1]
	ds_load_b128 v[0:3], v238 offset:34816
	s_wait_dscnt 0x0
	v_mul_f64_e32 v[12:13], v[91:92], v[2:3]
	v_fma_f64 v[209:210], v[89:90], v[0:1], v[12:13]
	v_mul_f64_e32 v[0:1], v[91:92], v[0:1]
	s_delay_alu instid0(VALU_DEP_1) | instskip(SKIP_3) | instid1(VALU_DEP_1)
	v_fma_f64 v[211:212], v[89:90], v[2:3], -v[0:1]
	ds_load_b128 v[0:3], v238 offset:36864
	s_wait_dscnt 0x0
	v_mul_f64_e32 v[12:13], v[91:92], v[2:3]
	v_fma_f64 v[213:214], v[89:90], v[0:1], v[12:13]
	v_mul_f64_e32 v[0:1], v[91:92], v[0:1]
	s_delay_alu instid0(VALU_DEP_1) | instskip(SKIP_3) | instid1(VALU_DEP_1)
	v_fma_f64 v[215:216], v[89:90], v[2:3], -v[0:1]
	ds_load_b128 v[0:3], v238 offset:38912
	s_wait_dscnt 0x0
	v_mul_f64_e32 v[12:13], v[91:92], v[2:3]
	v_fma_f64 v[217:218], v[89:90], v[0:1], v[12:13]
	v_mul_f64_e32 v[0:1], v[91:92], v[0:1]
	s_delay_alu instid0(VALU_DEP_1)
	v_fma_f64 v[89:90], v[89:90], v[2:3], -v[0:1]
	ds_load_b128 v[0:3], v238
	ds_load_b128 v[8:11], v238 offset:8192
	ds_load_b128 v[12:15], v238 offset:2048
	;; [unrolled: 1-line block ×4, first 2 shown]
	global_wb scope:SCOPE_SE
	s_wait_dscnt 0x0
	s_barrier_signal -1
	s_barrier_wait -1
	global_inv scope:SCOPE_SE
	v_add_f64_e64 v[4:5], v[0:1], -v[4:5]
	v_add_f64_e64 v[6:7], v[2:3], -v[6:7]
	s_delay_alu instid0(VALU_DEP_2) | instskip(NEXT) | instid1(VALU_DEP_2)
	v_fma_f64 v[91:92], v[0:1], 2.0, -v[4:5]
	v_fma_f64 v[219:220], v[2:3], 2.0, -v[6:7]
	v_add_f64_e32 v[0:1], v[4:5], v[221:222]
	v_add_f64_e64 v[2:3], v[6:7], -v[223:224]
	s_delay_alu instid0(VALU_DEP_2) | instskip(NEXT) | instid1(VALU_DEP_2)
	v_fma_f64 v[4:5], v[4:5], 2.0, -v[0:1]
	v_fma_f64 v[6:7], v[6:7], 2.0, -v[2:3]
	ds_store_b128 v242, v[0:3] offset:192
	v_fma_f64 v[0:1], v[24:25], 2.0, -v[223:224]
	v_fma_f64 v[2:3], v[26:27], 2.0, -v[221:222]
	s_delay_alu instid0(VALU_DEP_2) | instskip(NEXT) | instid1(VALU_DEP_2)
	v_add_f64_e64 v[0:1], v[91:92], -v[0:1]
	v_add_f64_e64 v[2:3], v[219:220], -v[2:3]
	s_delay_alu instid0(VALU_DEP_2) | instskip(NEXT) | instid1(VALU_DEP_2)
	v_fma_f64 v[24:25], v[91:92], 2.0, -v[0:1]
	v_fma_f64 v[26:27], v[219:220], 2.0, -v[2:3]
	ds_store_b128 v242, v[0:3] offset:128
	ds_store_b128 v242, v[4:7] offset:64
	ds_store_b128 v242, v[24:27]
	v_add_f64_e64 v[4:5], v[12:13], -v[44:45]
	v_add_f64_e64 v[6:7], v[14:15], -v[46:47]
	;; [unrolled: 1-line block ×4, first 2 shown]
	s_delay_alu instid0(VALU_DEP_4) | instskip(NEXT) | instid1(VALU_DEP_4)
	v_fma_f64 v[12:13], v[12:13], 2.0, -v[4:5]
	v_fma_f64 v[14:15], v[14:15], 2.0, -v[6:7]
	s_delay_alu instid0(VALU_DEP_4) | instskip(NEXT) | instid1(VALU_DEP_4)
	v_add_f64_e32 v[0:1], v[4:5], v[24:25]
	v_add_f64_e64 v[2:3], v[6:7], -v[26:27]
	s_delay_alu instid0(VALU_DEP_2) | instskip(NEXT) | instid1(VALU_DEP_2)
	v_fma_f64 v[4:5], v[4:5], 2.0, -v[0:1]
	v_fma_f64 v[6:7], v[6:7], 2.0, -v[2:3]
	ds_store_b128 v248, v[0:3] offset:192
	v_fma_f64 v[0:1], v[28:29], 2.0, -v[26:27]
	v_fma_f64 v[2:3], v[30:31], 2.0, -v[24:25]
	s_delay_alu instid0(VALU_DEP_2) | instskip(NEXT) | instid1(VALU_DEP_2)
	v_add_f64_e64 v[0:1], v[12:13], -v[0:1]
	v_add_f64_e64 v[2:3], v[14:15], -v[2:3]
	s_delay_alu instid0(VALU_DEP_2) | instskip(NEXT) | instid1(VALU_DEP_2)
	v_fma_f64 v[12:13], v[12:13], 2.0, -v[0:1]
	v_fma_f64 v[14:15], v[14:15], 2.0, -v[2:3]
	ds_store_b128 v248, v[0:3] offset:128
	ds_store_b128 v248, v[4:7] offset:64
	ds_store_b128 v248, v[12:15]
	v_add_f64_e64 v[4:5], v[16:17], -v[85:86]
	v_add_f64_e64 v[6:7], v[18:19], -v[87:88]
	s_delay_alu instid0(VALU_DEP_2) | instskip(NEXT) | instid1(VALU_DEP_2)
	v_fma_f64 v[12:13], v[16:17], 2.0, -v[4:5]
	v_fma_f64 v[14:15], v[18:19], 2.0, -v[6:7]
	v_add_f64_e64 v[16:17], v[34:35], -v[211:212]
	v_add_f64_e64 v[18:19], v[32:33], -v[209:210]
	s_delay_alu instid0(VALU_DEP_2) | instskip(NEXT) | instid1(VALU_DEP_2)
	v_add_f64_e32 v[0:1], v[4:5], v[16:17]
	v_add_f64_e64 v[2:3], v[6:7], -v[18:19]
	s_delay_alu instid0(VALU_DEP_2) | instskip(NEXT) | instid1(VALU_DEP_2)
	v_fma_f64 v[4:5], v[4:5], 2.0, -v[0:1]
	v_fma_f64 v[6:7], v[6:7], 2.0, -v[2:3]
	ds_store_b128 v249, v[0:3] offset:192
	v_fma_f64 v[0:1], v[32:33], 2.0, -v[18:19]
	v_fma_f64 v[2:3], v[34:35], 2.0, -v[16:17]
	v_add_f64_e64 v[16:17], v[38:39], -v[215:216]
	v_add_f64_e64 v[18:19], v[36:37], -v[213:214]
	s_delay_alu instid0(VALU_DEP_4) | instskip(NEXT) | instid1(VALU_DEP_4)
	v_add_f64_e64 v[0:1], v[12:13], -v[0:1]
	v_add_f64_e64 v[2:3], v[14:15], -v[2:3]
	s_delay_alu instid0(VALU_DEP_2) | instskip(NEXT) | instid1(VALU_DEP_2)
	v_fma_f64 v[12:13], v[12:13], 2.0, -v[0:1]
	v_fma_f64 v[14:15], v[14:15], 2.0, -v[2:3]
	ds_store_b128 v249, v[0:3] offset:128
	ds_store_b128 v249, v[4:7] offset:64
	ds_store_b128 v249, v[12:15]
	v_add_f64_e64 v[4:5], v[20:21], -v[201:202]
	v_add_f64_e64 v[6:7], v[22:23], -v[203:204]
	s_delay_alu instid0(VALU_DEP_2) | instskip(NEXT) | instid1(VALU_DEP_2)
	v_add_f64_e32 v[0:1], v[4:5], v[16:17]
	v_add_f64_e64 v[2:3], v[6:7], -v[18:19]
	v_fma_f64 v[12:13], v[20:21], 2.0, -v[4:5]
	v_fma_f64 v[14:15], v[22:23], 2.0, -v[6:7]
	s_delay_alu instid0(VALU_DEP_4) | instskip(NEXT) | instid1(VALU_DEP_4)
	v_fma_f64 v[4:5], v[4:5], 2.0, -v[0:1]
	v_fma_f64 v[6:7], v[6:7], 2.0, -v[2:3]
	ds_store_b128 v241, v[0:3] offset:192
	v_fma_f64 v[0:1], v[36:37], 2.0, -v[18:19]
	v_fma_f64 v[2:3], v[38:39], 2.0, -v[16:17]
	s_delay_alu instid0(VALU_DEP_2) | instskip(NEXT) | instid1(VALU_DEP_2)
	v_add_f64_e64 v[0:1], v[12:13], -v[0:1]
	v_add_f64_e64 v[2:3], v[14:15], -v[2:3]
	s_delay_alu instid0(VALU_DEP_2) | instskip(NEXT) | instid1(VALU_DEP_2)
	v_fma_f64 v[12:13], v[12:13], 2.0, -v[0:1]
	v_fma_f64 v[14:15], v[14:15], 2.0, -v[2:3]
	ds_store_b128 v241, v[0:3] offset:128
	ds_store_b128 v241, v[4:7] offset:64
	ds_store_b128 v241, v[12:15]
	v_add_f64_e64 v[4:5], v[8:9], -v[205:206]
	v_add_f64_e64 v[6:7], v[10:11], -v[93:94]
	;; [unrolled: 1-line block ×4, first 2 shown]
	s_delay_alu instid0(VALU_DEP_4) | instskip(NEXT) | instid1(VALU_DEP_4)
	v_fma_f64 v[8:9], v[8:9], 2.0, -v[4:5]
	v_fma_f64 v[10:11], v[10:11], 2.0, -v[6:7]
	s_delay_alu instid0(VALU_DEP_4) | instskip(NEXT) | instid1(VALU_DEP_4)
	v_add_f64_e32 v[0:1], v[4:5], v[12:13]
	v_add_f64_e64 v[2:3], v[6:7], -v[14:15]
	s_delay_alu instid0(VALU_DEP_2) | instskip(NEXT) | instid1(VALU_DEP_2)
	v_fma_f64 v[4:5], v[4:5], 2.0, -v[0:1]
	v_fma_f64 v[6:7], v[6:7], 2.0, -v[2:3]
	ds_store_b128 v250, v[0:3] offset:192
	v_fma_f64 v[0:1], v[40:41], 2.0, -v[14:15]
	v_fma_f64 v[2:3], v[42:43], 2.0, -v[12:13]
	s_delay_alu instid0(VALU_DEP_2) | instskip(NEXT) | instid1(VALU_DEP_2)
	v_add_f64_e64 v[0:1], v[8:9], -v[0:1]
	v_add_f64_e64 v[2:3], v[10:11], -v[2:3]
	s_delay_alu instid0(VALU_DEP_2) | instskip(NEXT) | instid1(VALU_DEP_2)
	v_fma_f64 v[8:9], v[8:9], 2.0, -v[0:1]
	v_fma_f64 v[10:11], v[10:11], 2.0, -v[2:3]
	ds_store_b128 v250, v[0:3] offset:128
	ds_store_b128 v250, v[4:7] offset:64
	ds_store_b128 v250, v[8:11]
	global_wb scope:SCOPE_SE
	s_wait_dscnt 0x0
	s_barrier_signal -1
	s_barrier_wait -1
	global_inv scope:SCOPE_SE
	ds_load_b128 v[0:3], v238 offset:10240
	s_wait_dscnt 0x0
	v_mul_f64_e32 v[4:5], v[99:100], v[2:3]
	s_delay_alu instid0(VALU_DEP_1) | instskip(SKIP_1) | instid1(VALU_DEP_1)
	v_fma_f64 v[24:25], v[97:98], v[0:1], v[4:5]
	v_mul_f64_e32 v[0:1], v[99:100], v[0:1]
	v_fma_f64 v[26:27], v[97:98], v[2:3], -v[0:1]
	ds_load_b128 v[0:3], v238 offset:12288
	s_wait_dscnt 0x0
	v_mul_f64_e32 v[4:5], v[99:100], v[2:3]
	s_delay_alu instid0(VALU_DEP_1) | instskip(SKIP_1) | instid1(VALU_DEP_1)
	v_fma_f64 v[28:29], v[97:98], v[0:1], v[4:5]
	v_mul_f64_e32 v[0:1], v[99:100], v[0:1]
	v_fma_f64 v[30:31], v[97:98], v[2:3], -v[0:1]
	ds_load_b128 v[0:3], v238 offset:14336
	s_wait_dscnt 0x0
	v_mul_f64_e32 v[4:5], v[99:100], v[2:3]
	s_delay_alu instid0(VALU_DEP_1) | instskip(SKIP_1) | instid1(VALU_DEP_1)
	v_fma_f64 v[32:33], v[97:98], v[0:1], v[4:5]
	v_mul_f64_e32 v[0:1], v[99:100], v[0:1]
	v_fma_f64 v[34:35], v[97:98], v[2:3], -v[0:1]
	ds_load_b128 v[0:3], v238 offset:16384
	s_wait_dscnt 0x0
	v_mul_f64_e32 v[4:5], v[99:100], v[2:3]
	s_delay_alu instid0(VALU_DEP_1) | instskip(SKIP_1) | instid1(VALU_DEP_1)
	v_fma_f64 v[36:37], v[97:98], v[0:1], v[4:5]
	v_mul_f64_e32 v[0:1], v[99:100], v[0:1]
	v_fma_f64 v[38:39], v[97:98], v[2:3], -v[0:1]
	ds_load_b128 v[0:3], v238 offset:18432
	s_wait_dscnt 0x0
	v_mul_f64_e32 v[4:5], v[99:100], v[2:3]
	s_delay_alu instid0(VALU_DEP_1) | instskip(SKIP_1) | instid1(VALU_DEP_1)
	v_fma_f64 v[40:41], v[97:98], v[0:1], v[4:5]
	v_mul_f64_e32 v[0:1], v[99:100], v[0:1]
	v_fma_f64 v[42:43], v[97:98], v[2:3], -v[0:1]
	ds_load_b128 v[0:3], v238 offset:20480
	s_wait_dscnt 0x0
	v_mul_f64_e32 v[4:5], v[107:108], v[2:3]
	s_delay_alu instid0(VALU_DEP_1) | instskip(SKIP_1) | instid1(VALU_DEP_1)
	v_fma_f64 v[4:5], v[105:106], v[0:1], v[4:5]
	v_mul_f64_e32 v[0:1], v[107:108], v[0:1]
	v_fma_f64 v[6:7], v[105:106], v[2:3], -v[0:1]
	ds_load_b128 v[0:3], v238 offset:22528
	s_wait_dscnt 0x0
	v_mul_f64_e32 v[8:9], v[107:108], v[2:3]
	s_delay_alu instid0(VALU_DEP_1) | instskip(SKIP_1) | instid1(VALU_DEP_1)
	v_fma_f64 v[44:45], v[105:106], v[0:1], v[8:9]
	v_mul_f64_e32 v[0:1], v[107:108], v[0:1]
	v_fma_f64 v[46:47], v[105:106], v[2:3], -v[0:1]
	ds_load_b128 v[0:3], v238 offset:24576
	s_wait_dscnt 0x0
	v_mul_f64_e32 v[8:9], v[107:108], v[2:3]
	s_delay_alu instid0(VALU_DEP_1) | instskip(SKIP_1) | instid1(VALU_DEP_1)
	v_fma_f64 v[85:86], v[105:106], v[0:1], v[8:9]
	v_mul_f64_e32 v[0:1], v[107:108], v[0:1]
	v_fma_f64 v[87:88], v[105:106], v[2:3], -v[0:1]
	ds_load_b128 v[0:3], v238 offset:26624
	s_wait_dscnt 0x0
	v_mul_f64_e32 v[8:9], v[107:108], v[2:3]
	s_delay_alu instid0(VALU_DEP_1) | instskip(SKIP_1) | instid1(VALU_DEP_1)
	v_fma_f64 v[89:90], v[105:106], v[0:1], v[8:9]
	v_mul_f64_e32 v[0:1], v[107:108], v[0:1]
	v_fma_f64 v[91:92], v[105:106], v[2:3], -v[0:1]
	ds_load_b128 v[0:3], v238 offset:28672
	s_wait_dscnt 0x0
	v_mul_f64_e32 v[8:9], v[107:108], v[2:3]
	s_delay_alu instid0(VALU_DEP_1) | instskip(SKIP_1) | instid1(VALU_DEP_1)
	v_fma_f64 v[93:94], v[105:106], v[0:1], v[8:9]
	v_mul_f64_e32 v[0:1], v[107:108], v[0:1]
	v_fma_f64 v[95:96], v[105:106], v[2:3], -v[0:1]
	ds_load_b128 v[0:3], v238 offset:30720
	s_wait_dscnt 0x0
	v_mul_f64_e32 v[8:9], v[103:104], v[2:3]
	s_delay_alu instid0(VALU_DEP_1) | instskip(SKIP_1) | instid1(VALU_DEP_2)
	v_fma_f64 v[8:9], v[101:102], v[0:1], v[8:9]
	v_mul_f64_e32 v[0:1], v[103:104], v[0:1]
	v_add_f64_e64 v[211:212], v[24:25], -v[8:9]
	s_delay_alu instid0(VALU_DEP_2) | instskip(SKIP_4) | instid1(VALU_DEP_2)
	v_fma_f64 v[10:11], v[101:102], v[2:3], -v[0:1]
	ds_load_b128 v[0:3], v238 offset:32768
	s_wait_dscnt 0x0
	v_mul_f64_e32 v[12:13], v[103:104], v[2:3]
	v_add_f64_e64 v[209:210], v[26:27], -v[10:11]
	v_fma_f64 v[97:98], v[101:102], v[0:1], v[12:13]
	v_mul_f64_e32 v[0:1], v[103:104], v[0:1]
	s_delay_alu instid0(VALU_DEP_1) | instskip(SKIP_3) | instid1(VALU_DEP_1)
	v_fma_f64 v[99:100], v[101:102], v[2:3], -v[0:1]
	ds_load_b128 v[0:3], v238 offset:34816
	s_wait_dscnt 0x0
	v_mul_f64_e32 v[12:13], v[103:104], v[2:3]
	v_fma_f64 v[105:106], v[101:102], v[0:1], v[12:13]
	v_mul_f64_e32 v[0:1], v[103:104], v[0:1]
	s_delay_alu instid0(VALU_DEP_1) | instskip(SKIP_3) | instid1(VALU_DEP_1)
	v_fma_f64 v[107:108], v[101:102], v[2:3], -v[0:1]
	ds_load_b128 v[0:3], v238 offset:36864
	s_wait_dscnt 0x0
	v_mul_f64_e32 v[12:13], v[103:104], v[2:3]
	;; [unrolled: 7-line block ×3, first 2 shown]
	v_fma_f64 v[205:206], v[101:102], v[0:1], v[12:13]
	v_mul_f64_e32 v[0:1], v[103:104], v[0:1]
	s_delay_alu instid0(VALU_DEP_1)
	v_fma_f64 v[101:102], v[101:102], v[2:3], -v[0:1]
	ds_load_b128 v[0:3], v238
	ds_load_b128 v[8:11], v238 offset:8192
	ds_load_b128 v[12:15], v238 offset:2048
	ds_load_b128 v[16:19], v238 offset:4096
	ds_load_b128 v[20:23], v238 offset:6144
	global_wb scope:SCOPE_SE
	s_wait_dscnt 0x0
	s_barrier_signal -1
	s_barrier_wait -1
	global_inv scope:SCOPE_SE
	v_add_f64_e64 v[4:5], v[0:1], -v[4:5]
	v_add_f64_e64 v[6:7], v[2:3], -v[6:7]
	s_delay_alu instid0(VALU_DEP_2) | instskip(NEXT) | instid1(VALU_DEP_2)
	v_fma_f64 v[103:104], v[0:1], 2.0, -v[4:5]
	v_fma_f64 v[207:208], v[2:3], 2.0, -v[6:7]
	v_add_f64_e32 v[0:1], v[4:5], v[209:210]
	v_add_f64_e64 v[2:3], v[6:7], -v[211:212]
	s_delay_alu instid0(VALU_DEP_2) | instskip(NEXT) | instid1(VALU_DEP_2)
	v_fma_f64 v[4:5], v[4:5], 2.0, -v[0:1]
	v_fma_f64 v[6:7], v[6:7], 2.0, -v[2:3]
	ds_store_b128 v254, v[0:3] offset:768
	v_fma_f64 v[0:1], v[24:25], 2.0, -v[211:212]
	v_fma_f64 v[2:3], v[26:27], 2.0, -v[209:210]
	s_delay_alu instid0(VALU_DEP_2) | instskip(NEXT) | instid1(VALU_DEP_2)
	v_add_f64_e64 v[0:1], v[103:104], -v[0:1]
	v_add_f64_e64 v[2:3], v[207:208], -v[2:3]
	s_delay_alu instid0(VALU_DEP_2) | instskip(NEXT) | instid1(VALU_DEP_2)
	v_fma_f64 v[24:25], v[103:104], 2.0, -v[0:1]
	v_fma_f64 v[26:27], v[207:208], 2.0, -v[2:3]
	ds_store_b128 v254, v[0:3] offset:512
	ds_store_b128 v254, v[4:7] offset:256
	ds_store_b128 v254, v[24:27]
	v_add_f64_e64 v[4:5], v[12:13], -v[44:45]
	v_add_f64_e64 v[6:7], v[14:15], -v[46:47]
	v_add_f64_e64 v[24:25], v[30:31], -v[99:100]
	v_add_f64_e64 v[26:27], v[28:29], -v[97:98]
	s_delay_alu instid0(VALU_DEP_4) | instskip(NEXT) | instid1(VALU_DEP_4)
	v_fma_f64 v[12:13], v[12:13], 2.0, -v[4:5]
	v_fma_f64 v[14:15], v[14:15], 2.0, -v[6:7]
	s_delay_alu instid0(VALU_DEP_4) | instskip(NEXT) | instid1(VALU_DEP_4)
	v_add_f64_e32 v[0:1], v[4:5], v[24:25]
	v_add_f64_e64 v[2:3], v[6:7], -v[26:27]
	s_delay_alu instid0(VALU_DEP_2) | instskip(NEXT) | instid1(VALU_DEP_2)
	v_fma_f64 v[4:5], v[4:5], 2.0, -v[0:1]
	v_fma_f64 v[6:7], v[6:7], 2.0, -v[2:3]
	ds_store_b128 v255, v[0:3] offset:768
	v_fma_f64 v[0:1], v[28:29], 2.0, -v[26:27]
	v_fma_f64 v[2:3], v[30:31], 2.0, -v[24:25]
	s_delay_alu instid0(VALU_DEP_2) | instskip(NEXT) | instid1(VALU_DEP_2)
	v_add_f64_e64 v[0:1], v[12:13], -v[0:1]
	v_add_f64_e64 v[2:3], v[14:15], -v[2:3]
	s_delay_alu instid0(VALU_DEP_2) | instskip(NEXT) | instid1(VALU_DEP_2)
	v_fma_f64 v[12:13], v[12:13], 2.0, -v[0:1]
	v_fma_f64 v[14:15], v[14:15], 2.0, -v[2:3]
	ds_store_b128 v255, v[0:3] offset:512
	ds_store_b128 v255, v[4:7] offset:256
	ds_store_b128 v255, v[12:15]
	v_add_f64_e64 v[4:5], v[16:17], -v[85:86]
	v_add_f64_e64 v[6:7], v[18:19], -v[87:88]
	s_delay_alu instid0(VALU_DEP_2) | instskip(NEXT) | instid1(VALU_DEP_2)
	v_fma_f64 v[12:13], v[16:17], 2.0, -v[4:5]
	v_fma_f64 v[14:15], v[18:19], 2.0, -v[6:7]
	v_add_f64_e64 v[16:17], v[34:35], -v[107:108]
	v_add_f64_e64 v[18:19], v[32:33], -v[105:106]
	s_delay_alu instid0(VALU_DEP_2) | instskip(NEXT) | instid1(VALU_DEP_2)
	v_add_f64_e32 v[0:1], v[4:5], v[16:17]
	v_add_f64_e64 v[2:3], v[6:7], -v[18:19]
	s_delay_alu instid0(VALU_DEP_2) | instskip(NEXT) | instid1(VALU_DEP_2)
	v_fma_f64 v[4:5], v[4:5], 2.0, -v[0:1]
	v_fma_f64 v[6:7], v[6:7], 2.0, -v[2:3]
	ds_store_b128 v253, v[0:3] offset:768
	v_fma_f64 v[0:1], v[32:33], 2.0, -v[18:19]
	v_fma_f64 v[2:3], v[34:35], 2.0, -v[16:17]
	v_add_f64_e64 v[16:17], v[38:39], -v[203:204]
	v_add_f64_e64 v[18:19], v[36:37], -v[201:202]
	s_delay_alu instid0(VALU_DEP_4) | instskip(NEXT) | instid1(VALU_DEP_4)
	v_add_f64_e64 v[0:1], v[12:13], -v[0:1]
	v_add_f64_e64 v[2:3], v[14:15], -v[2:3]
	s_delay_alu instid0(VALU_DEP_2) | instskip(NEXT) | instid1(VALU_DEP_2)
	v_fma_f64 v[12:13], v[12:13], 2.0, -v[0:1]
	v_fma_f64 v[14:15], v[14:15], 2.0, -v[2:3]
	ds_store_b128 v253, v[0:3] offset:512
	ds_store_b128 v253, v[4:7] offset:256
	ds_store_b128 v253, v[12:15]
	v_add_f64_e64 v[4:5], v[20:21], -v[89:90]
	v_add_f64_e64 v[6:7], v[22:23], -v[91:92]
	s_delay_alu instid0(VALU_DEP_2) | instskip(NEXT) | instid1(VALU_DEP_2)
	v_add_f64_e32 v[0:1], v[4:5], v[16:17]
	v_add_f64_e64 v[2:3], v[6:7], -v[18:19]
	v_fma_f64 v[12:13], v[20:21], 2.0, -v[4:5]
	v_fma_f64 v[14:15], v[22:23], 2.0, -v[6:7]
	s_delay_alu instid0(VALU_DEP_4) | instskip(NEXT) | instid1(VALU_DEP_4)
	v_fma_f64 v[4:5], v[4:5], 2.0, -v[0:1]
	v_fma_f64 v[6:7], v[6:7], 2.0, -v[2:3]
	ds_store_b128 v252, v[0:3] offset:768
	v_fma_f64 v[0:1], v[36:37], 2.0, -v[18:19]
	v_fma_f64 v[2:3], v[38:39], 2.0, -v[16:17]
	s_delay_alu instid0(VALU_DEP_2) | instskip(NEXT) | instid1(VALU_DEP_2)
	v_add_f64_e64 v[0:1], v[12:13], -v[0:1]
	v_add_f64_e64 v[2:3], v[14:15], -v[2:3]
	s_delay_alu instid0(VALU_DEP_2) | instskip(NEXT) | instid1(VALU_DEP_2)
	v_fma_f64 v[12:13], v[12:13], 2.0, -v[0:1]
	v_fma_f64 v[14:15], v[14:15], 2.0, -v[2:3]
	ds_store_b128 v252, v[0:3] offset:512
	ds_store_b128 v252, v[4:7] offset:256
	ds_store_b128 v252, v[12:15]
	v_add_f64_e64 v[4:5], v[8:9], -v[93:94]
	v_add_f64_e64 v[6:7], v[10:11], -v[95:96]
	;; [unrolled: 1-line block ×4, first 2 shown]
	s_delay_alu instid0(VALU_DEP_4) | instskip(NEXT) | instid1(VALU_DEP_4)
	v_fma_f64 v[8:9], v[8:9], 2.0, -v[4:5]
	v_fma_f64 v[10:11], v[10:11], 2.0, -v[6:7]
	s_delay_alu instid0(VALU_DEP_4) | instskip(NEXT) | instid1(VALU_DEP_4)
	v_add_f64_e32 v[0:1], v[4:5], v[12:13]
	v_add_f64_e64 v[2:3], v[6:7], -v[14:15]
	s_delay_alu instid0(VALU_DEP_2) | instskip(NEXT) | instid1(VALU_DEP_2)
	v_fma_f64 v[4:5], v[4:5], 2.0, -v[0:1]
	v_fma_f64 v[6:7], v[6:7], 2.0, -v[2:3]
	ds_store_b128 v251, v[0:3] offset:768
	v_fma_f64 v[0:1], v[40:41], 2.0, -v[14:15]
	v_fma_f64 v[2:3], v[42:43], 2.0, -v[12:13]
	s_delay_alu instid0(VALU_DEP_2) | instskip(NEXT) | instid1(VALU_DEP_2)
	v_add_f64_e64 v[0:1], v[8:9], -v[0:1]
	v_add_f64_e64 v[2:3], v[10:11], -v[2:3]
	s_delay_alu instid0(VALU_DEP_2) | instskip(NEXT) | instid1(VALU_DEP_2)
	v_fma_f64 v[8:9], v[8:9], 2.0, -v[0:1]
	v_fma_f64 v[10:11], v[10:11], 2.0, -v[2:3]
	ds_store_b128 v251, v[0:3] offset:512
	ds_store_b128 v251, v[4:7] offset:256
	ds_store_b128 v251, v[8:11]
	global_wb scope:SCOPE_SE
	s_wait_dscnt 0x0
	s_barrier_signal -1
	s_barrier_wait -1
	global_inv scope:SCOPE_SE
	ds_load_b128 v[0:3], v238 offset:4096
	s_wait_dscnt 0x0
	v_mul_f64_e32 v[4:5], v[111:112], v[2:3]
	s_delay_alu instid0(VALU_DEP_1) | instskip(SKIP_1) | instid1(VALU_DEP_1)
	v_fma_f64 v[201:202], v[109:110], v[0:1], v[4:5]
	v_mul_f64_e32 v[0:1], v[111:112], v[0:1]
	v_fma_f64 v[203:204], v[109:110], v[2:3], -v[0:1]
	ds_load_b128 v[0:3], v238 offset:6144
	s_wait_dscnt 0x0
	v_mul_f64_e32 v[4:5], v[111:112], v[2:3]
	s_delay_alu instid0(VALU_DEP_1) | instskip(SKIP_1) | instid1(VALU_DEP_1)
	v_fma_f64 v[85:86], v[109:110], v[0:1], v[4:5]
	v_mul_f64_e32 v[0:1], v[111:112], v[0:1]
	v_fma_f64 v[87:88], v[109:110], v[2:3], -v[0:1]
	;; [unrolled: 7-line block ×5, first 2 shown]
	ds_load_b128 v[0:3], v238 offset:14336
	s_wait_dscnt 0x0
	v_mul_f64_e32 v[4:5], v[127:128], v[2:3]
	v_add_f64_e32 v[6:7], v[203:204], v[139:140]
	s_delay_alu instid0(VALU_DEP_2) | instskip(SKIP_1) | instid1(VALU_DEP_1)
	v_fma_f64 v[93:94], v[125:126], v[0:1], v[4:5]
	v_mul_f64_e32 v[0:1], v[127:128], v[0:1]
	v_fma_f64 v[95:96], v[125:126], v[2:3], -v[0:1]
	ds_load_b128 v[0:3], v238 offset:16384
	s_wait_dscnt 0x0
	v_mul_f64_e32 v[4:5], v[123:124], v[2:3]
	s_delay_alu instid0(VALU_DEP_1) | instskip(SKIP_1) | instid1(VALU_DEP_1)
	v_fma_f64 v[125:126], v[121:122], v[0:1], v[4:5]
	v_mul_f64_e32 v[0:1], v[123:124], v[0:1]
	v_fma_f64 v[127:128], v[121:122], v[2:3], -v[0:1]
	ds_load_b128 v[0:3], v238 offset:18432
	s_wait_dscnt 0x0
	v_mul_f64_e32 v[4:5], v[123:124], v[2:3]
	v_add_f64_e64 v[28:29], v[127:128], -v[207:208]
	s_delay_alu instid0(VALU_DEP_2) | instskip(SKIP_1) | instid1(VALU_DEP_1)
	v_fma_f64 v[97:98], v[121:122], v[0:1], v[4:5]
	v_mul_f64_e32 v[0:1], v[123:124], v[0:1]
	v_fma_f64 v[99:100], v[121:122], v[2:3], -v[0:1]
	ds_load_b128 v[0:3], v238 offset:24576
	s_wait_dscnt 0x0
	v_mul_f64_e32 v[4:5], v[131:132], v[2:3]
	s_delay_alu instid0(VALU_DEP_1) | instskip(SKIP_1) | instid1(VALU_DEP_2)
	v_fma_f64 v[121:122], v[129:130], v[0:1], v[4:5]
	v_mul_f64_e32 v[0:1], v[131:132], v[0:1]
	v_add_f64_e64 v[224:225], v[125:126], -v[121:122]
	s_delay_alu instid0(VALU_DEP_2) | instskip(SKIP_4) | instid1(VALU_DEP_2)
	v_fma_f64 v[123:124], v[129:130], v[2:3], -v[0:1]
	ds_load_b128 v[0:3], v238 offset:26624
	s_wait_dscnt 0x0
	v_mul_f64_e32 v[4:5], v[131:132], v[2:3]
	v_add_f64_e64 v[220:221], v[127:128], -v[123:124]
	v_fma_f64 v[101:102], v[129:130], v[0:1], v[4:5]
	v_mul_f64_e32 v[0:1], v[131:132], v[0:1]
	s_delay_alu instid0(VALU_DEP_1) | instskip(SKIP_3) | instid1(VALU_DEP_1)
	v_fma_f64 v[103:104], v[129:130], v[2:3], -v[0:1]
	ds_load_b128 v[0:3], v238 offset:32768
	s_wait_dscnt 0x0
	v_mul_f64_e32 v[4:5], v[135:136], v[2:3]
	v_fma_f64 v[129:130], v[133:134], v[0:1], v[4:5]
	v_mul_f64_e32 v[0:1], v[135:136], v[0:1]
	s_delay_alu instid0(VALU_DEP_2) | instskip(NEXT) | instid1(VALU_DEP_2)
	v_add_f64_e64 v[222:223], v[205:206], -v[129:130]
	v_fma_f64 v[131:132], v[133:134], v[2:3], -v[0:1]
	ds_load_b128 v[0:3], v238 offset:34816
	s_wait_dscnt 0x0
	v_mul_f64_e32 v[4:5], v[135:136], v[2:3]
	v_add_f64_e64 v[218:219], v[207:208], -v[131:132]
	v_add_f64_e64 v[30:31], v[123:124], -v[131:132]
	s_delay_alu instid0(VALU_DEP_3) | instskip(SKIP_1) | instid1(VALU_DEP_3)
	v_fma_f64 v[105:106], v[133:134], v[0:1], v[4:5]
	v_mul_f64_e32 v[0:1], v[135:136], v[0:1]
	v_add_f64_e32 v[28:29], v[28:29], v[30:31]
	s_delay_alu instid0(VALU_DEP_2) | instskip(SKIP_3) | instid1(VALU_DEP_1)
	v_fma_f64 v[107:108], v[133:134], v[2:3], -v[0:1]
	ds_load_b128 v[0:3], v238 offset:20480
	s_wait_dscnt 0x0
	v_mul_f64_e32 v[4:5], v[119:120], v[2:3]
	v_fma_f64 v[133:134], v[117:118], v[0:1], v[4:5]
	v_mul_f64_e32 v[0:1], v[119:120], v[0:1]
	s_delay_alu instid0(VALU_DEP_1) | instskip(SKIP_4) | instid1(VALU_DEP_2)
	v_fma_f64 v[135:136], v[117:118], v[2:3], -v[0:1]
	ds_load_b128 v[0:3], v238 offset:22528
	s_wait_dscnt 0x0
	v_mul_f64_e32 v[4:5], v[119:120], v[2:3]
	v_add_f64_e32 v[6:7], v[6:7], v[135:136]
	v_fma_f64 v[109:110], v[117:118], v[0:1], v[4:5]
	v_mul_f64_e32 v[0:1], v[119:120], v[0:1]
	s_delay_alu instid0(VALU_DEP_1) | instskip(SKIP_3) | instid1(VALU_DEP_1)
	v_fma_f64 v[111:112], v[117:118], v[2:3], -v[0:1]
	ds_load_b128 v[0:3], v238 offset:28672
	s_wait_dscnt 0x0
	v_mul_f64_e32 v[4:5], v[115:116], v[2:3]
	v_fma_f64 v[119:120], v[113:114], v[0:1], v[4:5]
	v_mul_f64_e32 v[0:1], v[115:116], v[0:1]
	s_delay_alu instid0(VALU_DEP_2) | instskip(NEXT) | instid1(VALU_DEP_2)
	v_add_f64_e64 v[212:213], v[133:134], -v[119:120]
	v_fma_f64 v[210:211], v[113:114], v[2:3], -v[0:1]
	ds_load_b128 v[0:3], v238 offset:30720
	s_wait_dscnt 0x0
	v_mul_f64_e32 v[4:5], v[115:116], v[2:3]
	v_add_f64_e32 v[6:7], v[6:7], v[210:211]
	v_add_f64_e64 v[216:217], v[135:136], -v[210:211]
	s_delay_alu instid0(VALU_DEP_3) | instskip(SKIP_1) | instid1(VALU_DEP_1)
	v_fma_f64 v[117:118], v[113:114], v[0:1], v[4:5]
	v_mul_f64_e32 v[0:1], v[115:116], v[0:1]
	v_fma_f64 v[113:114], v[113:114], v[2:3], -v[0:1]
	ds_load_b128 v[0:3], v238 offset:36864
	s_wait_dscnt 0x0
	v_mul_f64_e32 v[4:5], v[83:84], v[2:3]
	s_delay_alu instid0(VALU_DEP_1) | instskip(SKIP_1) | instid1(VALU_DEP_1)
	v_fma_f64 v[16:17], v[81:82], v[0:1], v[4:5]
	v_mul_f64_e32 v[0:1], v[83:84], v[0:1]
	v_fma_f64 v[18:19], v[81:82], v[2:3], -v[0:1]
	ds_load_b128 v[0:3], v238 offset:38912
	s_wait_dscnt 0x0
	v_mul_f64_e32 v[4:5], v[83:84], v[2:3]
	v_add_f64_e32 v[6:7], v[6:7], v[18:19]
	v_add_f64_e64 v[214:215], v[139:140], -v[18:19]
	s_delay_alu instid0(VALU_DEP_3) | instskip(SKIP_3) | instid1(VALU_DEP_3)
	v_fma_f64 v[115:116], v[81:82], v[0:1], v[4:5]
	v_mul_f64_e32 v[0:1], v[83:84], v[0:1]
	v_add_f64_e32 v[4:5], v[125:126], v[121:122]
	v_add_f64_e64 v[83:84], v[137:138], -v[16:17]
	v_fma_f64 v[81:82], v[81:82], v[2:3], -v[0:1]
	ds_load_b128 v[0:3], v238
	s_wait_dscnt 0x0
	v_fma_f64 v[32:33], v[4:5], -0.5, v[0:1]
	v_add_f64_e32 v[4:5], v[205:206], v[129:130]
	s_delay_alu instid0(VALU_DEP_1) | instskip(SKIP_2) | instid1(VALU_DEP_2)
	v_fma_f64 v[24:25], v[4:5], -0.5, v[0:1]
	v_add_f64_e32 v[4:5], v[127:128], v[123:124]
	v_add_f64_e32 v[0:1], v[0:1], v[205:206]
	v_fma_f64 v[34:35], v[4:5], -0.5, v[2:3]
	v_add_f64_e32 v[4:5], v[207:208], v[131:132]
	s_delay_alu instid0(VALU_DEP_3) | instskip(NEXT) | instid1(VALU_DEP_2)
	v_add_f64_e32 v[0:1], v[0:1], v[125:126]
	v_fma_f64 v[26:27], v[4:5], -0.5, v[2:3]
	v_add_f64_e32 v[2:3], v[2:3], v[207:208]
	v_add_f64_e32 v[4:5], v[201:202], v[137:138]
	s_delay_alu instid0(VALU_DEP_4) | instskip(NEXT) | instid1(VALU_DEP_3)
	v_add_f64_e32 v[0:1], v[0:1], v[121:122]
	v_add_f64_e32 v[2:3], v[2:3], v[127:128]
	s_delay_alu instid0(VALU_DEP_3) | instskip(NEXT) | instid1(VALU_DEP_3)
	v_add_f64_e32 v[4:5], v[4:5], v[133:134]
	v_add_f64_e32 v[8:9], v[0:1], v[129:130]
	s_delay_alu instid0(VALU_DEP_3) | instskip(NEXT) | instid1(VALU_DEP_3)
	v_add_f64_e32 v[2:3], v[2:3], v[123:124]
	v_add_f64_e32 v[4:5], v[4:5], v[119:120]
	s_delay_alu instid0(VALU_DEP_2) | instskip(NEXT) | instid1(VALU_DEP_2)
	v_add_f64_e32 v[10:11], v[2:3], v[131:132]
	v_add_f64_e32 v[4:5], v[4:5], v[16:17]
	s_delay_alu instid0(VALU_DEP_2) | instskip(NEXT) | instid1(VALU_DEP_2)
	v_add_f64_e32 v[2:3], v[10:11], v[6:7]
	v_add_f64_e32 v[0:1], v[8:9], v[4:5]
	v_add_f64_e64 v[4:5], v[8:9], -v[4:5]
	v_add_f64_e64 v[6:7], v[10:11], -v[6:7]
	;; [unrolled: 1-line block ×4, first 2 shown]
	s_delay_alu instid0(VALU_DEP_1) | instskip(SKIP_4) | instid1(VALU_DEP_3)
	v_add_f64_e32 v[36:37], v[8:9], v[10:11]
	v_add_f64_e64 v[8:9], v[207:208], -v[127:128]
	v_add_f64_e64 v[10:11], v[131:132], -v[123:124]
	v_add_f64_e32 v[123:124], v[139:140], v[18:19]
	v_add_f64_e64 v[131:132], v[97:98], -v[101:102]
	v_add_f64_e32 v[38:39], v[8:9], v[10:11]
	v_add_f64_e64 v[8:9], v[137:138], -v[133:134]
	v_add_f64_e64 v[10:11], v[16:17], -v[119:120]
	v_fma_f64 v[123:124], v[123:124], -0.5, v[203:204]
	s_delay_alu instid0(VALU_DEP_2) | instskip(SKIP_3) | instid1(VALU_DEP_2)
	v_add_f64_e32 v[40:41], v[8:9], v[10:11]
	v_add_f64_e64 v[8:9], v[139:140], -v[135:136]
	v_add_f64_e64 v[10:11], v[18:19], -v[210:211]
	;; [unrolled: 1-line block ×3, first 2 shown]
	v_add_f64_e32 v[42:43], v[8:9], v[10:11]
	v_add_f64_e32 v[8:9], v[133:134], v[119:120]
	v_add_f64_e64 v[119:120], v[119:120], -v[16:17]
	v_add_f64_e32 v[16:17], v[137:138], v[16:17]
	s_delay_alu instid0(VALU_DEP_3) | instskip(SKIP_1) | instid1(VALU_DEP_2)
	v_fma_f64 v[44:45], v[8:9], -0.5, v[201:202]
	v_add_f64_e32 v[8:9], v[135:136], v[210:211]
	v_fma_f64 v[10:11], v[214:215], s[20:21], v[44:45]
	s_delay_alu instid0(VALU_DEP_2) | instskip(SKIP_1) | instid1(VALU_DEP_3)
	v_fma_f64 v[46:47], v[8:9], -0.5, v[203:204]
	v_fma_f64 v[44:45], v[214:215], s[18:19], v[44:45]
	v_fma_f64 v[10:11], v[216:217], s[14:15], v[10:11]
	s_delay_alu instid0(VALU_DEP_3) | instskip(SKIP_1) | instid1(VALU_DEP_4)
	v_fma_f64 v[8:9], v[83:84], s[18:19], v[46:47]
	v_fma_f64 v[46:47], v[83:84], s[20:21], v[46:47]
	;; [unrolled: 1-line block ×3, first 2 shown]
	s_delay_alu instid0(VALU_DEP_4) | instskip(NEXT) | instid1(VALU_DEP_4)
	v_fma_f64 v[10:11], v[40:41], s[16:17], v[10:11]
	v_fma_f64 v[8:9], v[212:213], s[12:13], v[8:9]
	s_delay_alu instid0(VALU_DEP_4) | instskip(NEXT) | instid1(VALU_DEP_2)
	v_fma_f64 v[46:47], v[212:213], s[14:15], v[46:47]
	v_fma_f64 v[8:9], v[42:43], s[16:17], v[8:9]
	s_delay_alu instid0(VALU_DEP_2) | instskip(NEXT) | instid1(VALU_DEP_2)
	v_fma_f64 v[42:43], v[42:43], s[16:17], v[46:47]
	v_mul_f64_e32 v[12:13], s[14:15], v[8:9]
	v_mul_f64_e32 v[8:9], s[22:23], v[8:9]
	s_delay_alu instid0(VALU_DEP_2) | instskip(NEXT) | instid1(VALU_DEP_2)
	v_fma_f64 v[12:13], v[10:11], s[22:23], v[12:13]
	v_fma_f64 v[14:15], v[10:11], s[12:13], v[8:9]
	;; [unrolled: 1-line block ×6, first 2 shown]
	s_delay_alu instid0(VALU_DEP_4) | instskip(NEXT) | instid1(VALU_DEP_4)
	v_fma_f64 v[8:9], v[220:221], s[14:15], v[8:9]
	v_fma_f64 v[10:11], v[224:225], s[12:13], v[10:11]
	s_delay_alu instid0(VALU_DEP_4) | instskip(NEXT) | instid1(VALU_DEP_4)
	v_fma_f64 v[32:33], v[220:221], s[12:13], v[32:33]
	v_fma_f64 v[34:35], v[224:225], s[14:15], v[34:35]
	;; [unrolled: 3-line block ×3, first 2 shown]
	s_delay_alu instid0(VALU_DEP_4)
	v_fma_f64 v[36:37], v[36:37], s[16:17], v[32:33]
	v_fma_f64 v[32:33], v[40:41], s[16:17], v[44:45]
	;; [unrolled: 1-line block ×3, first 2 shown]
	v_mul_f64_e32 v[34:35], s[14:15], v[42:43]
	v_mul_f64_e32 v[40:41], s[26:27], v[42:43]
	v_add_f64_e32 v[8:9], v[20:21], v[12:13]
	v_add_f64_e32 v[10:11], v[22:23], v[14:15]
	v_add_f64_e64 v[12:13], v[20:21], -v[12:13]
	v_add_f64_e64 v[14:15], v[22:23], -v[14:15]
	;; [unrolled: 1-line block ×6, first 2 shown]
	v_fma_f64 v[42:43], v[32:33], s[26:27], v[34:35]
	v_fma_f64 v[40:41], v[32:33], s[12:13], v[40:41]
	v_add_f64_e32 v[127:128], v[20:21], v[22:23]
	s_delay_alu instid0(VALU_DEP_4)
	v_add_f64_e32 v[30:31], v[125:126], v[119:120]
	v_add_f64_e32 v[119:120], v[121:122], v[18:19]
	v_fma_f64 v[121:122], v[16:17], -0.5, v[201:202]
	v_fma_f64 v[16:17], v[212:213], s[20:21], v[123:124]
	v_fma_f64 v[123:124], v[212:213], s[18:19], v[123:124]
	v_add_f64_e32 v[32:33], v[36:37], v[42:43]
	v_add_f64_e32 v[34:35], v[38:39], v[40:41]
	v_add_f64_e64 v[36:37], v[36:37], -v[42:43]
	v_add_f64_e64 v[38:39], v[38:39], -v[40:41]
	ds_load_b128 v[40:43], v238 offset:2048
	global_wb scope:SCOPE_SE
	s_wait_dscnt 0x0
	s_barrier_signal -1
	s_barrier_wait -1
	global_inv scope:SCOPE_SE
	v_fma_f64 v[18:19], v[216:217], s[18:19], v[121:122]
	v_fma_f64 v[16:17], v[83:84], s[12:13], v[16:17]
	;; [unrolled: 1-line block ×4, first 2 shown]
	v_add_f64_e64 v[83:84], v[93:94], -v[115:116]
	v_fma_f64 v[18:19], v[214:215], s[14:15], v[18:19]
	v_fma_f64 v[16:17], v[119:120], s[16:17], v[16:17]
	;; [unrolled: 1-line block ×4, first 2 shown]
	s_delay_alu instid0(VALU_DEP_4) | instskip(NEXT) | instid1(VALU_DEP_4)
	v_fma_f64 v[18:19], v[30:31], s[16:17], v[18:19]
	v_mul_f64_e32 v[20:21], s[20:21], v[16:17]
	v_mul_f64_e32 v[16:17], s[16:17], v[16:17]
	v_fma_f64 v[30:31], v[30:31], s[16:17], v[121:122]
	s_delay_alu instid0(VALU_DEP_3) | instskip(NEXT) | instid1(VALU_DEP_3)
	v_fma_f64 v[20:21], v[18:19], s[16:17], v[20:21]
	v_fma_f64 v[22:23], v[18:19], s[18:19], v[16:17]
	;; [unrolled: 1-line block ×5, first 2 shown]
	s_delay_alu instid0(VALU_DEP_3) | instskip(NEXT) | instid1(VALU_DEP_3)
	v_fma_f64 v[16:17], v[218:219], s[14:15], v[16:17]
	v_fma_f64 v[24:25], v[218:219], s[12:13], v[24:25]
	s_delay_alu instid0(VALU_DEP_3) | instskip(NEXT) | instid1(VALU_DEP_3)
	v_fma_f64 v[18:19], v[222:223], s[12:13], v[18:19]
	v_fma_f64 v[125:126], v[127:128], s[16:17], v[16:17]
	s_delay_alu instid0(VALU_DEP_3)
	v_fma_f64 v[121:122], v[127:128], s[16:17], v[24:25]
	v_fma_f64 v[24:25], v[224:225], s[18:19], v[26:27]
	v_mul_f64_e32 v[26:27], s[24:25], v[119:120]
	v_fma_f64 v[129:130], v[28:29], s[16:17], v[18:19]
	v_add_f64_e64 v[127:128], v[99:100], -v[103:104]
	v_add_f64_e32 v[16:17], v[125:126], v[20:21]
	v_add_f64_e64 v[20:21], v[125:126], -v[20:21]
	v_fma_f64 v[24:25], v[222:223], s[14:15], v[24:25]
	v_add_f64_e64 v[125:126], v[91:92], -v[107:108]
	v_add_f64_e32 v[18:19], v[129:130], v[22:23]
	v_add_f64_e64 v[22:23], v[129:130], -v[22:23]
	v_add_f64_e64 v[129:130], v[89:90], -v[105:106]
	v_fma_f64 v[123:124], v[28:29], s[16:17], v[24:25]
	v_mul_f64_e32 v[24:25], s[20:21], v[119:120]
	v_add_f64_e64 v[119:120], v[109:110], -v[117:118]
	s_delay_alu instid0(VALU_DEP_2) | instskip(SKIP_1) | instid1(VALU_DEP_2)
	v_fma_f64 v[28:29], v[30:31], s[24:25], v[24:25]
	v_fma_f64 v[30:31], v[30:31], s[18:19], v[26:27]
	v_add_f64_e32 v[24:25], v[121:122], v[28:29]
	s_delay_alu instid0(VALU_DEP_2)
	v_add_f64_e32 v[26:27], v[123:124], v[30:31]
	v_add_f64_e64 v[28:29], v[121:122], -v[28:29]
	v_add_f64_e64 v[30:31], v[123:124], -v[30:31]
	ds_store_b128 v243, v[0:3]
	ds_store_b128 v243, v[4:7] offset:5120
	ds_store_b128 v243, v[8:11] offset:1024
	;; [unrolled: 1-line block ×9, first 2 shown]
	v_add_f64_e32 v[0:1], v[97:98], v[101:102]
	v_add_f64_e32 v[2:3], v[42:43], v[91:92]
	;; [unrolled: 1-line block ×4, first 2 shown]
	v_add_f64_e64 v[121:122], v[95:96], -v[81:82]
	v_add_f64_e64 v[123:124], v[111:112], -v[113:114]
	v_add_f64_e32 v[30:31], v[95:96], v[81:82]
	v_add_f64_e64 v[28:29], v[111:112], -v[95:96]
	v_add_f64_e64 v[20:21], v[99:100], -v[91:92]
	;; [unrolled: 1-line block ×3, first 2 shown]
	v_fma_f64 v[32:33], v[0:1], -0.5, v[40:41]
	v_add_f64_e32 v[0:1], v[89:90], v[105:106]
	v_add_f64_e32 v[2:3], v[2:3], v[99:100]
	;; [unrolled: 1-line block ×4, first 2 shown]
	v_fma_f64 v[30:31], v[30:31], -0.5, v[87:88]
	v_fma_f64 v[24:25], v[0:1], -0.5, v[40:41]
	v_add_f64_e32 v[0:1], v[99:100], v[103:104]
	v_add_f64_e32 v[2:3], v[2:3], v[103:104]
	v_add_f64_e32 v[4:5], v[4:5], v[117:118]
	v_add_f64_e32 v[6:7], v[6:7], v[113:114]
	s_delay_alu instid0(VALU_DEP_4) | instskip(SKIP_4) | instid1(VALU_DEP_4)
	v_fma_f64 v[34:35], v[0:1], -0.5, v[42:43]
	v_add_f64_e32 v[0:1], v[91:92], v[107:108]
	v_add_f64_e32 v[10:11], v[2:3], v[107:108]
	;; [unrolled: 1-line block ×4, first 2 shown]
	v_fma_f64 v[26:27], v[0:1], -0.5, v[42:43]
	v_add_f64_e32 v[0:1], v[40:41], v[89:90]
	s_delay_alu instid0(VALU_DEP_3) | instskip(SKIP_2) | instid1(VALU_DEP_4)
	v_add_f64_e32 v[2:3], v[10:11], v[6:7]
	v_add_f64_e64 v[6:7], v[10:11], -v[6:7]
	v_add_f64_e64 v[10:11], v[105:106], -v[101:102]
	v_add_f64_e32 v[0:1], v[0:1], v[97:98]
	s_delay_alu instid0(VALU_DEP_1) | instskip(NEXT) | instid1(VALU_DEP_1)
	v_add_f64_e32 v[0:1], v[0:1], v[101:102]
	v_add_f64_e32 v[8:9], v[0:1], v[105:106]
	s_delay_alu instid0(VALU_DEP_1) | instskip(SKIP_2) | instid1(VALU_DEP_1)
	v_add_f64_e32 v[0:1], v[8:9], v[4:5]
	v_add_f64_e64 v[4:5], v[8:9], -v[4:5]
	v_add_f64_e64 v[8:9], v[89:90], -v[97:98]
	v_add_f64_e32 v[36:37], v[8:9], v[10:11]
	v_add_f64_e64 v[8:9], v[91:92], -v[99:100]
	v_add_f64_e64 v[10:11], v[107:108], -v[103:104]
	;; [unrolled: 1-line block ×3, first 2 shown]
	s_delay_alu instid0(VALU_DEP_2) | instskip(SKIP_2) | instid1(VALU_DEP_1)
	v_add_f64_e32 v[38:39], v[8:9], v[10:11]
	v_add_f64_e64 v[8:9], v[93:94], -v[109:110]
	v_add_f64_e64 v[10:11], v[115:116], -v[117:118]
	v_add_f64_e32 v[40:41], v[8:9], v[10:11]
	v_add_f64_e64 v[8:9], v[95:96], -v[111:112]
	v_add_f64_e64 v[10:11], v[81:82], -v[113:114]
	;; [unrolled: 1-line block ×3, first 2 shown]
	v_add_f64_e32 v[95:96], v[20:21], v[22:23]
	s_delay_alu instid0(VALU_DEP_3) | instskip(SKIP_1) | instid1(VALU_DEP_4)
	v_add_f64_e32 v[42:43], v[8:9], v[10:11]
	v_add_f64_e32 v[8:9], v[109:110], v[117:118]
	;; [unrolled: 1-line block ×3, first 2 shown]
	s_delay_alu instid0(VALU_DEP_2) | instskip(SKIP_1) | instid1(VALU_DEP_2)
	v_fma_f64 v[44:45], v[8:9], -0.5, v[85:86]
	v_add_f64_e32 v[8:9], v[111:112], v[113:114]
	v_fma_f64 v[10:11], v[121:122], s[20:21], v[44:45]
	s_delay_alu instid0(VALU_DEP_2) | instskip(SKIP_1) | instid1(VALU_DEP_3)
	v_fma_f64 v[46:47], v[8:9], -0.5, v[87:88]
	v_fma_f64 v[44:45], v[121:122], s[18:19], v[44:45]
	v_fma_f64 v[10:11], v[123:124], s[14:15], v[10:11]
	s_delay_alu instid0(VALU_DEP_3) | instskip(SKIP_1) | instid1(VALU_DEP_4)
	v_fma_f64 v[8:9], v[83:84], s[18:19], v[46:47]
	v_fma_f64 v[46:47], v[83:84], s[20:21], v[46:47]
	;; [unrolled: 1-line block ×3, first 2 shown]
	s_delay_alu instid0(VALU_DEP_4) | instskip(NEXT) | instid1(VALU_DEP_4)
	v_fma_f64 v[10:11], v[40:41], s[16:17], v[10:11]
	v_fma_f64 v[8:9], v[119:120], s[12:13], v[8:9]
	s_delay_alu instid0(VALU_DEP_4) | instskip(NEXT) | instid1(VALU_DEP_4)
	v_fma_f64 v[46:47], v[119:120], s[14:15], v[46:47]
	v_fma_f64 v[40:41], v[40:41], s[16:17], v[44:45]
	s_delay_alu instid0(VALU_DEP_3) | instskip(NEXT) | instid1(VALU_DEP_3)
	v_fma_f64 v[8:9], v[42:43], s[16:17], v[8:9]
	v_fma_f64 v[42:43], v[42:43], s[16:17], v[46:47]
	s_delay_alu instid0(VALU_DEP_2) | instskip(SKIP_1) | instid1(VALU_DEP_2)
	v_mul_f64_e32 v[12:13], s[14:15], v[8:9]
	v_mul_f64_e32 v[8:9], s[22:23], v[8:9]
	v_fma_f64 v[12:13], v[10:11], s[22:23], v[12:13]
	s_delay_alu instid0(VALU_DEP_2) | instskip(SKIP_4) | instid1(VALU_DEP_4)
	v_fma_f64 v[14:15], v[10:11], s[12:13], v[8:9]
	v_fma_f64 v[8:9], v[125:126], s[20:21], v[32:33]
	;; [unrolled: 1-line block ×6, first 2 shown]
	s_delay_alu instid0(VALU_DEP_4) | instskip(NEXT) | instid1(VALU_DEP_4)
	v_fma_f64 v[10:11], v[131:132], s[12:13], v[10:11]
	v_fma_f64 v[32:33], v[127:128], s[12:13], v[32:33]
	s_delay_alu instid0(VALU_DEP_4) | instskip(NEXT) | instid1(VALU_DEP_4)
	v_fma_f64 v[34:35], v[131:132], s[14:15], v[34:35]
	v_fma_f64 v[16:17], v[36:37], s[16:17], v[8:9]
	;; [unrolled: 3-line block ×3, first 2 shown]
	s_delay_alu instid0(VALU_DEP_4)
	v_fma_f64 v[38:39], v[38:39], s[16:17], v[34:35]
	v_mul_f64_e32 v[32:33], s[14:15], v[42:43]
	v_mul_f64_e32 v[34:35], s[26:27], v[42:43]
	v_add_f64_e32 v[8:9], v[16:17], v[12:13]
	v_add_f64_e32 v[10:11], v[18:19], v[14:15]
	v_add_f64_e64 v[12:13], v[16:17], -v[12:13]
	v_add_f64_e64 v[14:15], v[18:19], -v[14:15]
	;; [unrolled: 1-line block ×5, first 2 shown]
	v_add_f64_e32 v[93:94], v[93:94], v[115:116]
	v_fma_f64 v[42:43], v[40:41], s[26:27], v[32:33]
	v_fma_f64 v[40:41], v[40:41], s[12:13], v[34:35]
	v_add_f64_e32 v[87:88], v[16:17], v[18:19]
	v_fma_f64 v[16:17], v[119:120], s[20:21], v[30:31]
	v_fma_f64 v[81:82], v[93:94], -0.5, v[85:86]
	v_add_f64_e32 v[89:90], v[89:90], v[91:92]
	v_fma_f64 v[30:31], v[119:120], s[18:19], v[30:31]
	v_add_f64_e32 v[32:33], v[36:37], v[42:43]
	v_add_f64_e32 v[34:35], v[38:39], v[40:41]
	v_add_f64_e64 v[36:37], v[36:37], -v[42:43]
	v_add_f64_e64 v[38:39], v[38:39], -v[40:41]
	v_fma_f64 v[16:17], v[83:84], s[12:13], v[16:17]
	v_fma_f64 v[18:19], v[123:124], s[18:19], v[81:82]
	v_fma_f64 v[30:31], v[83:84], s[14:15], v[30:31]
	s_delay_alu instid0(VALU_DEP_3) | instskip(NEXT) | instid1(VALU_DEP_3)
	v_fma_f64 v[16:17], v[28:29], s[16:17], v[16:17]
	v_fma_f64 v[18:19], v[121:122], s[14:15], v[18:19]
	s_delay_alu instid0(VALU_DEP_3) | instskip(SKIP_1) | instid1(VALU_DEP_4)
	v_fma_f64 v[28:29], v[28:29], s[16:17], v[30:31]
	v_fma_f64 v[30:31], v[123:124], s[20:21], v[81:82]
	v_mul_f64_e32 v[20:21], s[20:21], v[16:17]
	s_delay_alu instid0(VALU_DEP_4) | instskip(SKIP_1) | instid1(VALU_DEP_4)
	v_fma_f64 v[18:19], v[89:90], s[16:17], v[18:19]
	v_mul_f64_e32 v[16:17], s[16:17], v[16:17]
	v_fma_f64 v[30:31], v[121:122], s[12:13], v[30:31]
	s_delay_alu instid0(VALU_DEP_3) | instskip(NEXT) | instid1(VALU_DEP_3)
	v_fma_f64 v[20:21], v[18:19], s[16:17], v[20:21]
	v_fma_f64 v[22:23], v[18:19], s[18:19], v[16:17]
	;; [unrolled: 1-line block ×6, first 2 shown]
	s_delay_alu instid0(VALU_DEP_4) | instskip(NEXT) | instid1(VALU_DEP_4)
	v_fma_f64 v[16:17], v[125:126], s[14:15], v[16:17]
	v_fma_f64 v[24:25], v[125:126], s[12:13], v[24:25]
	s_delay_alu instid0(VALU_DEP_4) | instskip(NEXT) | instid1(VALU_DEP_3)
	v_fma_f64 v[18:19], v[129:130], s[12:13], v[18:19]
	v_fma_f64 v[85:86], v[87:88], s[16:17], v[16:17]
	s_delay_alu instid0(VALU_DEP_3)
	v_fma_f64 v[81:82], v[87:88], s[16:17], v[24:25]
	v_fma_f64 v[24:25], v[131:132], s[18:19], v[26:27]
	v_mul_f64_e32 v[26:27], s[24:25], v[28:29]
	v_fma_f64 v[91:92], v[95:96], s[16:17], v[18:19]
	v_add_f64_e32 v[16:17], v[85:86], v[20:21]
	v_add_f64_e64 v[20:21], v[85:86], -v[20:21]
	v_fma_f64 v[24:25], v[129:130], s[14:15], v[24:25]
	s_delay_alu instid0(VALU_DEP_4) | instskip(SKIP_1) | instid1(VALU_DEP_3)
	v_add_f64_e32 v[18:19], v[91:92], v[22:23]
	v_add_f64_e64 v[22:23], v[91:92], -v[22:23]
	v_fma_f64 v[85:86], v[95:96], s[16:17], v[24:25]
	v_mul_f64_e32 v[24:25], s[20:21], v[28:29]
	s_delay_alu instid0(VALU_DEP_1) | instskip(SKIP_1) | instid1(VALU_DEP_2)
	v_fma_f64 v[28:29], v[30:31], s[24:25], v[24:25]
	v_fma_f64 v[30:31], v[30:31], s[18:19], v[26:27]
	v_add_f64_e32 v[24:25], v[81:82], v[28:29]
	s_delay_alu instid0(VALU_DEP_2)
	v_add_f64_e32 v[26:27], v[85:86], v[30:31]
	v_add_f64_e64 v[28:29], v[81:82], -v[28:29]
	v_add_f64_e64 v[30:31], v[85:86], -v[30:31]
	ds_store_b128 v237, v[0:3]
	ds_store_b128 v237, v[8:11] offset:1024
	ds_store_b128 v237, v[16:19] offset:2048
	;; [unrolled: 1-line block ×9, first 2 shown]
	global_wb scope:SCOPE_SE
	s_wait_dscnt 0x0
	s_barrier_signal -1
	s_barrier_wait -1
	global_inv scope:SCOPE_SE
	ds_load_b128 v[0:3], v238 offset:10240
	s_wait_dscnt 0x0
	v_mul_f64_e32 v[4:5], v[143:144], v[2:3]
	s_delay_alu instid0(VALU_DEP_1) | instskip(SKIP_1) | instid1(VALU_DEP_1)
	v_fma_f64 v[81:82], v[141:142], v[0:1], v[4:5]
	v_mul_f64_e32 v[0:1], v[143:144], v[0:1]
	v_fma_f64 v[83:84], v[141:142], v[2:3], -v[0:1]
	ds_load_b128 v[0:3], v238 offset:20480
	s_wait_dscnt 0x0
	v_mul_f64_e32 v[4:5], v[159:160], v[2:3]
	s_delay_alu instid0(VALU_DEP_1) | instskip(SKIP_1) | instid1(VALU_DEP_1)
	v_fma_f64 v[91:92], v[157:158], v[0:1], v[4:5]
	v_mul_f64_e32 v[0:1], v[159:160], v[0:1]
	v_fma_f64 v[95:96], v[157:158], v[2:3], -v[0:1]
	;; [unrolled: 7-line block ×5, first 2 shown]
	ds_load_b128 v[0:3], v238 offset:32768
	s_wait_dscnt 0x0
	v_mul_f64_e32 v[8:9], v[163:164], v[2:3]
	s_delay_alu instid0(VALU_DEP_1) | instskip(SKIP_1) | instid1(VALU_DEP_2)
	v_fma_f64 v[8:9], v[161:162], v[0:1], v[8:9]
	v_mul_f64_e32 v[0:1], v[163:164], v[0:1]
	v_add_f64_e64 v[34:35], v[85:86], -v[8:9]
	s_delay_alu instid0(VALU_DEP_2) | instskip(SKIP_4) | instid1(VALU_DEP_2)
	v_fma_f64 v[10:11], v[161:162], v[2:3], -v[0:1]
	ds_load_b128 v[0:3], v238 offset:14336
	s_wait_dscnt 0x0
	v_mul_f64_e32 v[12:13], v[167:168], v[2:3]
	v_add_f64_e64 v[32:33], v[87:88], -v[10:11]
	v_fma_f64 v[89:90], v[165:166], v[0:1], v[12:13]
	v_mul_f64_e32 v[0:1], v[167:168], v[0:1]
	s_delay_alu instid0(VALU_DEP_1) | instskip(SKIP_3) | instid1(VALU_DEP_1)
	v_fma_f64 v[93:94], v[165:166], v[2:3], -v[0:1]
	ds_load_b128 v[0:3], v238 offset:24576
	s_wait_dscnt 0x0
	v_mul_f64_e32 v[12:13], v[171:172], v[2:3]
	v_fma_f64 v[109:110], v[169:170], v[0:1], v[12:13]
	v_mul_f64_e32 v[0:1], v[171:172], v[0:1]
	s_delay_alu instid0(VALU_DEP_1) | instskip(SKIP_3) | instid1(VALU_DEP_1)
	v_fma_f64 v[113:114], v[169:170], v[2:3], -v[0:1]
	ds_load_b128 v[0:3], v238 offset:34816
	s_wait_dscnt 0x0
	v_mul_f64_e32 v[12:13], v[175:176], v[2:3]
	v_fma_f64 v[111:112], v[173:174], v[0:1], v[12:13]
	v_mul_f64_e32 v[0:1], v[175:176], v[0:1]
	s_delay_alu instid0(VALU_DEP_2) | instskip(NEXT) | instid1(VALU_DEP_2)
	v_add_f64_e64 v[42:43], v[89:90], -v[111:112]
	v_fma_f64 v[115:116], v[173:174], v[2:3], -v[0:1]
	ds_load_b128 v[0:3], v238 offset:16384
	s_wait_dscnt 0x0
	v_mul_f64_e32 v[12:13], v[179:180], v[2:3]
	v_add_f64_e64 v[40:41], v[93:94], -v[115:116]
	s_delay_alu instid0(VALU_DEP_2) | instskip(SKIP_1) | instid1(VALU_DEP_1)
	v_fma_f64 v[97:98], v[177:178], v[0:1], v[12:13]
	v_mul_f64_e32 v[0:1], v[179:180], v[0:1]
	v_fma_f64 v[101:102], v[177:178], v[2:3], -v[0:1]
	ds_load_b128 v[0:3], v238 offset:26624
	s_wait_dscnt 0x0
	v_mul_f64_e32 v[12:13], v[183:184], v[2:3]
	s_delay_alu instid0(VALU_DEP_1) | instskip(SKIP_1) | instid1(VALU_DEP_1)
	v_fma_f64 v[117:118], v[181:182], v[0:1], v[12:13]
	v_mul_f64_e32 v[0:1], v[183:184], v[0:1]
	v_fma_f64 v[121:122], v[181:182], v[2:3], -v[0:1]
	ds_load_b128 v[0:3], v238 offset:36864
	s_wait_dscnt 0x0
	v_mul_f64_e32 v[12:13], v[187:188], v[2:3]
	s_delay_alu instid0(VALU_DEP_1) | instskip(SKIP_1) | instid1(VALU_DEP_2)
	v_fma_f64 v[119:120], v[185:186], v[0:1], v[12:13]
	v_mul_f64_e32 v[0:1], v[187:188], v[0:1]
	v_add_f64_e64 v[111:112], v[97:98], -v[119:120]
	s_delay_alu instid0(VALU_DEP_2) | instskip(SKIP_3) | instid1(VALU_DEP_1)
	v_fma_f64 v[123:124], v[185:186], v[2:3], -v[0:1]
	ds_load_b128 v[0:3], v238 offset:18432
	s_wait_dscnt 0x0
	v_mul_f64_e32 v[12:13], v[191:192], v[2:3]
	v_fma_f64 v[105:106], v[189:190], v[0:1], v[12:13]
	v_mul_f64_e32 v[0:1], v[191:192], v[0:1]
	s_delay_alu instid0(VALU_DEP_1) | instskip(SKIP_3) | instid1(VALU_DEP_1)
	v_fma_f64 v[107:108], v[189:190], v[2:3], -v[0:1]
	ds_load_b128 v[0:3], v238 offset:28672
	s_wait_dscnt 0x0
	v_mul_f64_e32 v[12:13], v[199:200], v[2:3]
	v_fma_f64 v[125:126], v[197:198], v[0:1], v[12:13]
	v_mul_f64_e32 v[0:1], v[199:200], v[0:1]
	s_delay_alu instid0(VALU_DEP_1) | instskip(SKIP_3) | instid1(VALU_DEP_1)
	v_fma_f64 v[129:130], v[197:198], v[2:3], -v[0:1]
	ds_load_b128 v[0:3], v238 offset:38912
	s_wait_dscnt 0x0
	v_mul_f64_e32 v[12:13], v[195:196], v[2:3]
	v_fma_f64 v[127:128], v[193:194], v[0:1], v[12:13]
	v_mul_f64_e32 v[0:1], v[195:196], v[0:1]
	s_delay_alu instid0(VALU_DEP_2) | instskip(NEXT) | instid1(VALU_DEP_2)
	v_add_f64_e64 v[119:120], v[105:106], -v[127:128]
	v_fma_f64 v[131:132], v[193:194], v[2:3], -v[0:1]
	ds_load_b128 v[0:3], v238 offset:2048
	s_wait_dscnt 0x0
	v_add_f64_e64 v[4:5], v[0:1], -v[4:5]
	v_add_f64_e64 v[6:7], v[2:3], -v[6:7]
	s_delay_alu instid0(VALU_DEP_2) | instskip(NEXT) | instid1(VALU_DEP_2)
	v_fma_f64 v[28:29], v[0:1], 2.0, -v[4:5]
	v_fma_f64 v[30:31], v[2:3], 2.0, -v[6:7]
	v_add_f64_e32 v[0:1], v[4:5], v[32:33]
	v_add_f64_e64 v[2:3], v[6:7], -v[34:35]
	s_delay_alu instid0(VALU_DEP_2) | instskip(NEXT) | instid1(VALU_DEP_2)
	v_fma_f64 v[4:5], v[4:5], 2.0, -v[0:1]
	v_fma_f64 v[6:7], v[6:7], 2.0, -v[2:3]
	ds_store_b128 v238, v[0:3] offset:32768
	ds_load_b128 v[0:3], v238 offset:4096
	s_wait_dscnt 0x0
	v_add_f64_e64 v[8:9], v[0:1], -v[109:110]
	v_add_f64_e64 v[10:11], v[2:3], -v[113:114]
	;; [unrolled: 1-line block ×3, first 2 shown]
	s_delay_alu instid0(VALU_DEP_3) | instskip(NEXT) | instid1(VALU_DEP_3)
	v_fma_f64 v[36:37], v[0:1], 2.0, -v[8:9]
	v_fma_f64 v[38:39], v[2:3], 2.0, -v[10:11]
	v_add_f64_e32 v[0:1], v[8:9], v[40:41]
	v_add_f64_e64 v[2:3], v[10:11], -v[42:43]
	s_delay_alu instid0(VALU_DEP_2) | instskip(NEXT) | instid1(VALU_DEP_2)
	v_fma_f64 v[8:9], v[8:9], 2.0, -v[0:1]
	v_fma_f64 v[10:11], v[10:11], 2.0, -v[2:3]
	ds_store_b128 v238, v[0:3] offset:34816
	ds_load_b128 v[0:3], v238 offset:6144
	s_wait_dscnt 0x0
	v_add_f64_e64 v[12:13], v[0:1], -v[117:118]
	v_add_f64_e64 v[14:15], v[2:3], -v[121:122]
	;; [unrolled: 1-line block ×3, first 2 shown]
	s_delay_alu instid0(VALU_DEP_3) | instskip(NEXT) | instid1(VALU_DEP_3)
	v_fma_f64 v[44:45], v[0:1], 2.0, -v[12:13]
	v_fma_f64 v[46:47], v[2:3], 2.0, -v[14:15]
	v_add_f64_e32 v[0:1], v[12:13], v[109:110]
	v_add_f64_e64 v[2:3], v[14:15], -v[111:112]
	s_delay_alu instid0(VALU_DEP_2) | instskip(NEXT) | instid1(VALU_DEP_2)
	v_fma_f64 v[12:13], v[12:13], 2.0, -v[0:1]
	v_fma_f64 v[14:15], v[14:15], 2.0, -v[2:3]
	ds_store_b128 v238, v[0:3] offset:36864
	ds_load_b128 v[0:3], v238 offset:8192
	s_wait_dscnt 0x0
	v_add_f64_e64 v[16:17], v[0:1], -v[125:126]
	v_add_f64_e64 v[18:19], v[2:3], -v[129:130]
	s_delay_alu instid0(VALU_DEP_2) | instskip(NEXT) | instid1(VALU_DEP_2)
	v_fma_f64 v[113:114], v[0:1], 2.0, -v[16:17]
	v_fma_f64 v[115:116], v[2:3], 2.0, -v[18:19]
	v_add_f64_e32 v[0:1], v[16:17], v[117:118]
	v_add_f64_e64 v[2:3], v[18:19], -v[119:120]
	s_delay_alu instid0(VALU_DEP_2) | instskip(NEXT) | instid1(VALU_DEP_2)
	v_fma_f64 v[16:17], v[16:17], 2.0, -v[0:1]
	v_fma_f64 v[18:19], v[18:19], 2.0, -v[2:3]
	ds_store_b128 v238, v[0:3] offset:38912
	ds_load_b128 v[0:3], v238
	s_wait_dscnt 0x0
	v_add_f64_e64 v[20:21], v[0:1], -v[91:92]
	v_add_f64_e64 v[22:23], v[2:3], -v[95:96]
	;; [unrolled: 1-line block ×4, first 2 shown]
	s_delay_alu instid0(VALU_DEP_4) | instskip(NEXT) | instid1(VALU_DEP_4)
	v_fma_f64 v[24:25], v[0:1], 2.0, -v[20:21]
	v_fma_f64 v[26:27], v[2:3], 2.0, -v[22:23]
	s_delay_alu instid0(VALU_DEP_4) | instskip(NEXT) | instid1(VALU_DEP_4)
	v_add_f64_e32 v[0:1], v[20:21], v[91:92]
	v_add_f64_e64 v[2:3], v[22:23], -v[95:96]
	s_delay_alu instid0(VALU_DEP_2) | instskip(NEXT) | instid1(VALU_DEP_2)
	v_fma_f64 v[20:21], v[20:21], 2.0, -v[0:1]
	v_fma_f64 v[22:23], v[22:23], 2.0, -v[2:3]
	ds_store_b128 v238, v[0:3] offset:30720
	v_fma_f64 v[0:1], v[81:82], 2.0, -v[95:96]
	v_fma_f64 v[2:3], v[83:84], 2.0, -v[91:92]
	s_delay_alu instid0(VALU_DEP_2) | instskip(NEXT) | instid1(VALU_DEP_2)
	v_add_f64_e64 v[0:1], v[24:25], -v[0:1]
	v_add_f64_e64 v[2:3], v[26:27], -v[2:3]
	s_delay_alu instid0(VALU_DEP_2) | instskip(NEXT) | instid1(VALU_DEP_2)
	v_fma_f64 v[24:25], v[24:25], 2.0, -v[0:1]
	v_fma_f64 v[26:27], v[26:27], 2.0, -v[2:3]
	ds_store_b128 v238, v[0:3] offset:20480
	v_fma_f64 v[0:1], v[85:86], 2.0, -v[34:35]
	v_fma_f64 v[2:3], v[87:88], 2.0, -v[32:33]
	s_delay_alu instid0(VALU_DEP_2) | instskip(NEXT) | instid1(VALU_DEP_2)
	v_add_f64_e64 v[0:1], v[28:29], -v[0:1]
	v_add_f64_e64 v[2:3], v[30:31], -v[2:3]
	ds_store_b128 v238, v[0:3] offset:22528
	ds_store_b128 v238, v[4:7] offset:12288
	;; [unrolled: 1-line block ×3, first 2 shown]
	v_fma_f64 v[28:29], v[28:29], 2.0, -v[0:1]
	v_fma_f64 v[30:31], v[30:31], 2.0, -v[2:3]
	;; [unrolled: 1-line block ×4, first 2 shown]
	s_delay_alu instid0(VALU_DEP_2) | instskip(NEXT) | instid1(VALU_DEP_2)
	v_add_f64_e64 v[0:1], v[36:37], -v[0:1]
	v_add_f64_e64 v[2:3], v[38:39], -v[2:3]
	s_delay_alu instid0(VALU_DEP_2) | instskip(NEXT) | instid1(VALU_DEP_2)
	v_fma_f64 v[4:5], v[36:37], 2.0, -v[0:1]
	v_fma_f64 v[6:7], v[38:39], 2.0, -v[2:3]
	ds_store_b128 v238, v[0:3] offset:24576
	v_fma_f64 v[0:1], v[97:98], 2.0, -v[111:112]
	v_fma_f64 v[2:3], v[101:102], 2.0, -v[109:110]
	s_delay_alu instid0(VALU_DEP_2) | instskip(NEXT) | instid1(VALU_DEP_2)
	v_add_f64_e64 v[0:1], v[44:45], -v[0:1]
	v_add_f64_e64 v[2:3], v[46:47], -v[2:3]
	ds_store_b128 v238, v[0:3] offset:26624
	ds_store_b128 v238, v[12:15] offset:16384
	;; [unrolled: 1-line block ×3, first 2 shown]
	v_fma_f64 v[8:9], v[44:45], 2.0, -v[0:1]
	v_fma_f64 v[10:11], v[46:47], 2.0, -v[2:3]
	;; [unrolled: 1-line block ×4, first 2 shown]
	s_delay_alu instid0(VALU_DEP_2) | instskip(NEXT) | instid1(VALU_DEP_2)
	v_add_f64_e64 v[0:1], v[113:114], -v[0:1]
	v_add_f64_e64 v[2:3], v[115:116], -v[2:3]
	s_delay_alu instid0(VALU_DEP_2) | instskip(NEXT) | instid1(VALU_DEP_2)
	v_fma_f64 v[12:13], v[113:114], 2.0, -v[0:1]
	v_fma_f64 v[14:15], v[115:116], 2.0, -v[2:3]
	ds_store_b128 v238, v[0:3] offset:28672
	ds_store_b128 v238, v[20:23] offset:10240
	ds_store_b128 v238, v[24:27]
	ds_store_b128 v238, v[28:31] offset:2048
	ds_store_b128 v238, v[4:7] offset:4096
	;; [unrolled: 1-line block ×4, first 2 shown]
	global_wb scope:SCOPE_SE
	s_wait_dscnt 0x0
	s_barrier_signal -1
	s_barrier_wait -1
	global_inv scope:SCOPE_SE
	s_clause 0x4
	scratch_load_b128 v[6:9], off, off offset:184 th:TH_LOAD_LU
	scratch_load_b128 v[10:13], off, off offset:168 th:TH_LOAD_LU
	;; [unrolled: 1-line block ×5, first 2 shown]
	ds_load_b128 v[0:3], v238
	s_clause 0x5
	scratch_load_b128 v[22:25], off, off offset:8 th:TH_LOAD_LU
	scratch_load_b128 v[26:29], off, off offset:24 th:TH_LOAD_LU
	;; [unrolled: 1-line block ×6, first 2 shown]
	s_wait_loadcnt_dscnt 0xa00
	v_mul_f64_e32 v[4:5], v[8:9], v[2:3]
	s_delay_alu instid0(VALU_DEP_1) | instskip(SKIP_1) | instid1(VALU_DEP_1)
	v_fma_f64 v[4:5], v[6:7], v[0:1], v[4:5]
	v_mul_f64_e32 v[0:1], v[8:9], v[0:1]
	v_fma_f64 v[6:7], v[6:7], v[2:3], -v[0:1]
	ds_load_b128 v[0:3], v238 offset:10240
	s_wait_loadcnt_dscnt 0x900
	v_mul_f64_e32 v[8:9], v[12:13], v[2:3]
	s_delay_alu instid0(VALU_DEP_1) | instskip(SKIP_1) | instid1(VALU_DEP_1)
	v_fma_f64 v[8:9], v[10:11], v[0:1], v[8:9]
	v_mul_f64_e32 v[0:1], v[12:13], v[0:1]
	v_fma_f64 v[10:11], v[10:11], v[2:3], -v[0:1]
	ds_load_b128 v[0:3], v238 offset:20480
	;; [unrolled: 7-line block ×8, first 2 shown]
	s_wait_dscnt 0x0
	v_mul_f64_e32 v[36:37], v[40:41], v[2:3]
	s_delay_alu instid0(VALU_DEP_1) | instskip(SKIP_1) | instid1(VALU_DEP_1)
	v_fma_f64 v[36:37], v[38:39], v[0:1], v[36:37]
	v_mul_f64_e32 v[0:1], v[40:41], v[0:1]
	v_fma_f64 v[38:39], v[38:39], v[2:3], -v[0:1]
	ds_load_b128 v[0:3], v238 offset:14336
	s_wait_loadcnt_dscnt 0x100
	v_mul_f64_e32 v[40:41], v[44:45], v[2:3]
	s_delay_alu instid0(VALU_DEP_1) | instskip(SKIP_1) | instid1(VALU_DEP_1)
	v_fma_f64 v[40:41], v[42:43], v[0:1], v[40:41]
	v_mul_f64_e32 v[0:1], v[44:45], v[0:1]
	v_fma_f64 v[42:43], v[42:43], v[2:3], -v[0:1]
	ds_load_b128 v[0:3], v238 offset:24576
	s_wait_loadcnt_dscnt 0x0
	v_mul_f64_e32 v[44:45], v[83:84], v[2:3]
	s_delay_alu instid0(VALU_DEP_1)
	v_fma_f64 v[44:45], v[81:82], v[0:1], v[44:45]
	v_mul_f64_e32 v[0:1], v[83:84], v[0:1]
	scratch_load_b128 v[83:86], off, off offset:136 th:TH_LOAD_LU ; 16-byte Folded Reload
	v_fma_f64 v[46:47], v[81:82], v[2:3], -v[0:1]
	ds_load_b128 v[0:3], v238 offset:34816
	s_wait_loadcnt_dscnt 0x0
	v_mul_f64_e32 v[81:82], v[85:86], v[2:3]
	s_delay_alu instid0(VALU_DEP_1) | instskip(SKIP_1) | instid1(VALU_DEP_1)
	v_fma_f64 v[81:82], v[83:84], v[0:1], v[81:82]
	v_mul_f64_e32 v[0:1], v[85:86], v[0:1]
	v_fma_f64 v[83:84], v[83:84], v[2:3], -v[0:1]
	ds_load_b128 v[0:3], v238 offset:6144
	s_wait_dscnt 0x0
	v_mul_f64_e32 v[85:86], v[51:52], v[2:3]
	s_delay_alu instid0(VALU_DEP_1) | instskip(SKIP_1) | instid1(VALU_DEP_1)
	v_fma_f64 v[85:86], v[49:50], v[0:1], v[85:86]
	v_mul_f64_e32 v[0:1], v[51:52], v[0:1]
	v_fma_f64 v[48:49], v[49:50], v[2:3], -v[0:1]
	ds_load_b128 v[0:3], v238 offset:16384
	s_wait_dscnt 0x0
	;; [unrolled: 7-line block ×8, first 2 shown]
	v_mul_f64_e32 v[74:75], v[79:80], v[2:3]
	s_delay_alu instid0(VALU_DEP_1) | instskip(SKIP_1) | instid1(VALU_DEP_1)
	v_fma_f64 v[74:75], v[77:78], v[0:1], v[74:75]
	v_mul_f64_e32 v[0:1], v[79:80], v[0:1]
	v_fma_f64 v[76:77], v[77:78], v[2:3], -v[0:1]
	scratch_load_b64 v[2:3], off, off th:TH_LOAD_LU ; 8-byte Folded Reload
	s_wait_loadcnt 0x0
	v_mad_co_u64_u32 v[0:1], null, s6, v2, 0
	s_delay_alu instid0(VALU_DEP_1) | instskip(SKIP_2) | instid1(VALU_DEP_2)
	v_mad_co_u64_u32 v[1:2], null, s7, v2, v[1:2]
	v_mad_co_u64_u32 v[2:3], null, s4, v240, 0
	s_mul_u64 s[6:7], s[4:5], 0x2800
	v_lshlrev_b64_e32 v[0:1], 4, v[0:1]
	s_delay_alu instid0(VALU_DEP_2) | instskip(NEXT) | instid1(VALU_DEP_1)
	v_mad_co_u64_u32 v[78:79], null, s5, v240, v[3:4]
	v_mov_b32_e32 v3, v78
	s_delay_alu instid0(VALU_DEP_3) | instskip(SKIP_1) | instid1(VALU_DEP_4)
	v_add_co_u32 v78, vcc_lo, s0, v0
	s_wait_alu 0xfffd
	v_add_co_ci_u32_e32 v79, vcc_lo, s1, v1, vcc_lo
	s_delay_alu instid0(VALU_DEP_3)
	v_lshlrev_b64_e32 v[0:1], 4, v[2:3]
	s_mov_b32 s0, 0x9999999a
	s_mov_b32 s1, 0x3f399999
	s_wait_alu 0xfffe
	v_mul_f64_e32 v[2:3], s[0:1], v[6:7]
	v_mul_f64_e32 v[6:7], s[0:1], v[34:35]
	v_add_co_u32 v78, vcc_lo, v78, v0
	s_wait_alu 0xfffd
	v_add_co_ci_u32_e32 v79, vcc_lo, v79, v1, vcc_lo
	v_mul_f64_e32 v[0:1], s[0:1], v[4:5]
	s_delay_alu instid0(VALU_DEP_3) | instskip(SKIP_1) | instid1(VALU_DEP_3)
	v_add_co_u32 v4, vcc_lo, v78, s6
	s_wait_alu 0xfffd
	v_add_co_ci_u32_e32 v5, vcc_lo, s7, v79, vcc_lo
	v_mul_f64_e32 v[34:35], s[0:1], v[64:65]
	global_store_b128 v[78:79], v[0:3], off
	v_mul_f64_e32 v[0:1], s[0:1], v[8:9]
	v_mul_f64_e32 v[2:3], s[0:1], v[10:11]
	global_store_b128 v[4:5], v[0:3], off
	v_mul_f64_e32 v[0:1], s[0:1], v[12:13]
	v_mul_f64_e32 v[2:3], s[0:1], v[14:15]
	v_add_co_u32 v4, vcc_lo, v4, s6
	s_wait_alu 0xfffd
	v_add_co_ci_u32_e32 v5, vcc_lo, s7, v5, vcc_lo
	v_mul_f64_e32 v[12:13], s[0:1], v[81:82]
	v_mul_f64_e32 v[14:15], s[0:1], v[83:84]
	global_store_b128 v[4:5], v[0:3], off
	v_mul_f64_e32 v[0:1], s[0:1], v[16:17]
	v_mul_f64_e32 v[2:3], s[0:1], v[18:19]
	v_add_co_u32 v4, vcc_lo, v4, s6
	s_wait_alu 0xfffd
	v_add_co_ci_u32_e32 v5, vcc_lo, s7, v5, vcc_lo
	;; [unrolled: 8-line block ×3, first 2 shown]
	v_mul_f64_e32 v[20:21], s[0:1], v[50:51]
	s_delay_alu instid0(VALU_DEP_3) | instskip(SKIP_1) | instid1(VALU_DEP_3)
	v_add_co_u32 v8, vcc_lo, v4, s6
	s_wait_alu 0xfffd
	v_add_co_ci_u32_e32 v9, vcc_lo, s7, v5, vcc_lo
	v_mul_f64_e32 v[22:23], s[0:1], v[52:53]
	global_store_b128 v[4:5], v[0:3], off
	v_mul_f64_e32 v[0:1], s[0:1], v[24:25]
	v_mul_f64_e32 v[2:3], s[0:1], v[26:27]
	;; [unrolled: 1-line block ×6, first 2 shown]
	global_store_b128 v[8:9], v[0:3], off
	v_mul_f64_e32 v[0:1], s[0:1], v[28:29]
	v_mul_f64_e32 v[2:3], s[0:1], v[30:31]
	v_add_co_u32 v8, vcc_lo, v8, s6
	s_wait_alu 0xfffd
	v_add_co_ci_u32_e32 v9, vcc_lo, s7, v9, vcc_lo
	v_mul_f64_e32 v[28:29], s[0:1], v[58:59]
	s_delay_alu instid0(VALU_DEP_3) | instskip(SKIP_1) | instid1(VALU_DEP_3)
	v_add_co_u32 v10, vcc_lo, v8, s6
	s_wait_alu 0xfffd
	v_add_co_ci_u32_e32 v11, vcc_lo, s7, v9, vcc_lo
	v_mul_f64_e32 v[30:31], s[0:1], v[60:61]
	s_delay_alu instid0(VALU_DEP_3) | instskip(SKIP_1) | instid1(VALU_DEP_3)
	v_add_co_u32 v78, vcc_lo, v10, s2
	s_wait_alu 0xfffd
	v_add_co_ci_u32_e32 v79, vcc_lo, s3, v11, vcc_lo
	s_delay_alu instid0(VALU_DEP_2) | instskip(SKIP_1) | instid1(VALU_DEP_2)
	v_add_co_u32 v87, vcc_lo, v78, s6
	s_wait_alu 0xfffd
	v_add_co_ci_u32_e32 v88, vcc_lo, s7, v79, vcc_lo
	s_delay_alu instid0(VALU_DEP_2) | instskip(SKIP_1) | instid1(VALU_DEP_2)
	;; [unrolled: 4-line block ×4, first 2 shown]
	v_add_co_u32 v93, vcc_lo, v91, s2
	s_wait_alu 0xfffd
	v_add_co_ci_u32_e32 v94, vcc_lo, s3, v92, vcc_lo
	s_delay_alu instid0(VALU_DEP_2)
	v_add_co_u32 v48, vcc_lo, v93, s6
	global_store_b128 v[8:9], v[0:3], off
	v_mul_f64_e32 v[0:1], s[0:1], v[36:37]
	v_mul_f64_e32 v[2:3], s[0:1], v[38:39]
	global_store_b128 v[10:11], v[4:7], off
	v_mul_f64_e32 v[4:5], s[0:1], v[40:41]
	v_mul_f64_e32 v[6:7], s[0:1], v[42:43]
	;; [unrolled: 1-line block ×8, first 2 shown]
	s_wait_alu 0xfffd
	v_add_co_ci_u32_e32 v49, vcc_lo, s7, v94, vcc_lo
	v_mul_f64_e32 v[44:45], s[0:1], v[74:75]
	v_mul_f64_e32 v[46:47], s[0:1], v[76:77]
	global_store_b128 v[78:79], v[0:3], off
	v_add_co_u32 v0, vcc_lo, v48, s6
	s_wait_alu 0xfffd
	v_add_co_ci_u32_e32 v1, vcc_lo, s7, v49, vcc_lo
	global_store_b128 v[87:88], v[4:7], off
	v_add_co_u32 v2, vcc_lo, v0, s6
	s_wait_alu 0xfffd
	v_add_co_ci_u32_e32 v3, vcc_lo, s7, v1, vcc_lo
	s_delay_alu instid0(VALU_DEP_2) | instskip(SKIP_1) | instid1(VALU_DEP_2)
	v_add_co_u32 v50, vcc_lo, v2, s2
	s_wait_alu 0xfffd
	v_add_co_ci_u32_e32 v51, vcc_lo, s3, v3, vcc_lo
	s_delay_alu instid0(VALU_DEP_2) | instskip(SKIP_1) | instid1(VALU_DEP_2)
	;; [unrolled: 4-line block ×4, first 2 shown]
	v_add_co_u32 v52, vcc_lo, v6, s6
	s_wait_alu 0xfffd
	v_add_co_ci_u32_e32 v53, vcc_lo, s7, v7, vcc_lo
	global_store_b128 v[89:90], v[8:11], off
	global_store_b128 v[91:92], v[12:15], off
	;; [unrolled: 1-line block ×10, first 2 shown]
.LBB0_2:
	s_nop 0
	s_sendmsg sendmsg(MSG_DEALLOC_VGPRS)
	s_endpgm
	.section	.rodata,"a",@progbits
	.p2align	6, 0x0
	.amdhsa_kernel bluestein_single_back_len2560_dim1_dp_op_CI_CI
		.amdhsa_group_segment_fixed_size 40960
		.amdhsa_private_segment_fixed_size 224
		.amdhsa_kernarg_size 104
		.amdhsa_user_sgpr_count 2
		.amdhsa_user_sgpr_dispatch_ptr 0
		.amdhsa_user_sgpr_queue_ptr 0
		.amdhsa_user_sgpr_kernarg_segment_ptr 1
		.amdhsa_user_sgpr_dispatch_id 0
		.amdhsa_user_sgpr_private_segment_size 0
		.amdhsa_wavefront_size32 1
		.amdhsa_uses_dynamic_stack 0
		.amdhsa_enable_private_segment 1
		.amdhsa_system_sgpr_workgroup_id_x 1
		.amdhsa_system_sgpr_workgroup_id_y 0
		.amdhsa_system_sgpr_workgroup_id_z 0
		.amdhsa_system_sgpr_workgroup_info 0
		.amdhsa_system_vgpr_workitem_id 0
		.amdhsa_next_free_vgpr 256
		.amdhsa_next_free_sgpr 28
		.amdhsa_reserve_vcc 1
		.amdhsa_float_round_mode_32 0
		.amdhsa_float_round_mode_16_64 0
		.amdhsa_float_denorm_mode_32 3
		.amdhsa_float_denorm_mode_16_64 3
		.amdhsa_fp16_overflow 0
		.amdhsa_workgroup_processor_mode 1
		.amdhsa_memory_ordered 1
		.amdhsa_forward_progress 0
		.amdhsa_round_robin_scheduling 0
		.amdhsa_exception_fp_ieee_invalid_op 0
		.amdhsa_exception_fp_denorm_src 0
		.amdhsa_exception_fp_ieee_div_zero 0
		.amdhsa_exception_fp_ieee_overflow 0
		.amdhsa_exception_fp_ieee_underflow 0
		.amdhsa_exception_fp_ieee_inexact 0
		.amdhsa_exception_int_div_zero 0
	.end_amdhsa_kernel
	.text
.Lfunc_end0:
	.size	bluestein_single_back_len2560_dim1_dp_op_CI_CI, .Lfunc_end0-bluestein_single_back_len2560_dim1_dp_op_CI_CI
                                        ; -- End function
	.section	.AMDGPU.csdata,"",@progbits
; Kernel info:
; codeLenInByte = 23948
; NumSgprs: 30
; NumVgprs: 256
; ScratchSize: 224
; MemoryBound: 0
; FloatMode: 240
; IeeeMode: 1
; LDSByteSize: 40960 bytes/workgroup (compile time only)
; SGPRBlocks: 3
; VGPRBlocks: 31
; NumSGPRsForWavesPerEU: 30
; NumVGPRsForWavesPerEU: 256
; Occupancy: 3
; WaveLimiterHint : 1
; COMPUTE_PGM_RSRC2:SCRATCH_EN: 1
; COMPUTE_PGM_RSRC2:USER_SGPR: 2
; COMPUTE_PGM_RSRC2:TRAP_HANDLER: 0
; COMPUTE_PGM_RSRC2:TGID_X_EN: 1
; COMPUTE_PGM_RSRC2:TGID_Y_EN: 0
; COMPUTE_PGM_RSRC2:TGID_Z_EN: 0
; COMPUTE_PGM_RSRC2:TIDIG_COMP_CNT: 0
	.text
	.p2alignl 7, 3214868480
	.fill 96, 4, 3214868480
	.type	__hip_cuid_b06ede5a1a1e7eb5,@object ; @__hip_cuid_b06ede5a1a1e7eb5
	.section	.bss,"aw",@nobits
	.globl	__hip_cuid_b06ede5a1a1e7eb5
__hip_cuid_b06ede5a1a1e7eb5:
	.byte	0                               ; 0x0
	.size	__hip_cuid_b06ede5a1a1e7eb5, 1

	.ident	"AMD clang version 19.0.0git (https://github.com/RadeonOpenCompute/llvm-project roc-6.4.0 25133 c7fe45cf4b819c5991fe208aaa96edf142730f1d)"
	.section	".note.GNU-stack","",@progbits
	.addrsig
	.addrsig_sym __hip_cuid_b06ede5a1a1e7eb5
	.amdgpu_metadata
---
amdhsa.kernels:
  - .args:
      - .actual_access:  read_only
        .address_space:  global
        .offset:         0
        .size:           8
        .value_kind:     global_buffer
      - .actual_access:  read_only
        .address_space:  global
        .offset:         8
        .size:           8
        .value_kind:     global_buffer
      - .actual_access:  read_only
        .address_space:  global
        .offset:         16
        .size:           8
        .value_kind:     global_buffer
      - .actual_access:  read_only
        .address_space:  global
        .offset:         24
        .size:           8
        .value_kind:     global_buffer
      - .actual_access:  read_only
        .address_space:  global
        .offset:         32
        .size:           8
        .value_kind:     global_buffer
      - .offset:         40
        .size:           8
        .value_kind:     by_value
      - .address_space:  global
        .offset:         48
        .size:           8
        .value_kind:     global_buffer
      - .address_space:  global
        .offset:         56
        .size:           8
        .value_kind:     global_buffer
      - .address_space:  global
        .offset:         64
        .size:           8
        .value_kind:     global_buffer
      - .address_space:  global
        .offset:         72
        .size:           8
        .value_kind:     global_buffer
      - .offset:         80
        .size:           4
        .value_kind:     by_value
      - .address_space:  global
        .offset:         88
        .size:           8
        .value_kind:     global_buffer
      - .address_space:  global
        .offset:         96
        .size:           8
        .value_kind:     global_buffer
    .group_segment_fixed_size: 40960
    .kernarg_segment_align: 8
    .kernarg_segment_size: 104
    .language:       OpenCL C
    .language_version:
      - 2
      - 0
    .max_flat_workgroup_size: 128
    .name:           bluestein_single_back_len2560_dim1_dp_op_CI_CI
    .private_segment_fixed_size: 224
    .sgpr_count:     30
    .sgpr_spill_count: 0
    .symbol:         bluestein_single_back_len2560_dim1_dp_op_CI_CI.kd
    .uniform_work_group_size: 1
    .uses_dynamic_stack: false
    .vgpr_count:     256
    .vgpr_spill_count: 55
    .wavefront_size: 32
    .workgroup_processor_mode: 1
amdhsa.target:   amdgcn-amd-amdhsa--gfx1201
amdhsa.version:
  - 1
  - 2
...

	.end_amdgpu_metadata
